;; amdgpu-corpus repo=ROCm/rocFFT kind=compiled arch=gfx1201 opt=O3
	.text
	.amdgcn_target "amdgcn-amd-amdhsa--gfx1201"
	.amdhsa_code_object_version 6
	.protected	fft_rtc_fwd_len3888_factors_16_3_3_3_3_3_wgs_324_tpt_324_halfLds_dp_ip_CI_unitstride_sbrr_R2C_dirReg ; -- Begin function fft_rtc_fwd_len3888_factors_16_3_3_3_3_3_wgs_324_tpt_324_halfLds_dp_ip_CI_unitstride_sbrr_R2C_dirReg
	.globl	fft_rtc_fwd_len3888_factors_16_3_3_3_3_3_wgs_324_tpt_324_halfLds_dp_ip_CI_unitstride_sbrr_R2C_dirReg
	.p2align	8
	.type	fft_rtc_fwd_len3888_factors_16_3_3_3_3_3_wgs_324_tpt_324_halfLds_dp_ip_CI_unitstride_sbrr_R2C_dirReg,@function
fft_rtc_fwd_len3888_factors_16_3_3_3_3_3_wgs_324_tpt_324_halfLds_dp_ip_CI_unitstride_sbrr_R2C_dirReg: ; @fft_rtc_fwd_len3888_factors_16_3_3_3_3_3_wgs_324_tpt_324_halfLds_dp_ip_CI_unitstride_sbrr_R2C_dirReg
; %bb.0:
	s_clause 0x2
	s_load_b128 s[4:7], s[0:1], 0x0
	s_load_b64 s[8:9], s[0:1], 0x50
	s_load_b64 s[10:11], s[0:1], 0x18
	v_mul_u32_u24_e32 v1, 0x195, v0
	v_mov_b32_e32 v3, 0
	s_delay_alu instid0(VALU_DEP_2) | instskip(NEXT) | instid1(VALU_DEP_1)
	v_lshrrev_b32_e32 v1, 17, v1
	v_add_nc_u32_e32 v5, ttmp9, v1
	v_mov_b32_e32 v1, 0
	v_mov_b32_e32 v2, 0
	;; [unrolled: 1-line block ×3, first 2 shown]
	s_wait_kmcnt 0x0
	v_cmp_lt_u64_e64 s2, s[6:7], 2
	s_delay_alu instid0(VALU_DEP_1)
	s_and_b32 vcc_lo, exec_lo, s2
	s_cbranch_vccnz .LBB0_8
; %bb.1:
	s_load_b64 s[2:3], s[0:1], 0x10
	v_mov_b32_e32 v1, 0
	v_mov_b32_e32 v2, 0
	s_add_nc_u64 s[12:13], s[10:11], 8
	s_mov_b64 s[14:15], 1
	s_wait_kmcnt 0x0
	s_add_nc_u64 s[16:17], s[2:3], 8
	s_mov_b32 s3, 0
.LBB0_2:                                ; =>This Inner Loop Header: Depth=1
	s_load_b64 s[18:19], s[16:17], 0x0
                                        ; implicit-def: $vgpr7_vgpr8
	s_mov_b32 s2, exec_lo
	s_wait_kmcnt 0x0
	v_or_b32_e32 v4, s19, v6
	s_delay_alu instid0(VALU_DEP_1)
	v_cmpx_ne_u64_e32 0, v[3:4]
	s_wait_alu 0xfffe
	s_xor_b32 s20, exec_lo, s2
	s_cbranch_execz .LBB0_4
; %bb.3:                                ;   in Loop: Header=BB0_2 Depth=1
	s_cvt_f32_u32 s2, s18
	s_cvt_f32_u32 s21, s19
	s_sub_nc_u64 s[24:25], 0, s[18:19]
	s_wait_alu 0xfffe
	s_delay_alu instid0(SALU_CYCLE_1) | instskip(SKIP_1) | instid1(SALU_CYCLE_2)
	s_fmamk_f32 s2, s21, 0x4f800000, s2
	s_wait_alu 0xfffe
	v_s_rcp_f32 s2, s2
	s_delay_alu instid0(TRANS32_DEP_1) | instskip(SKIP_1) | instid1(SALU_CYCLE_2)
	s_mul_f32 s2, s2, 0x5f7ffffc
	s_wait_alu 0xfffe
	s_mul_f32 s21, s2, 0x2f800000
	s_wait_alu 0xfffe
	s_delay_alu instid0(SALU_CYCLE_2) | instskip(SKIP_1) | instid1(SALU_CYCLE_2)
	s_trunc_f32 s21, s21
	s_wait_alu 0xfffe
	s_fmamk_f32 s2, s21, 0xcf800000, s2
	s_cvt_u32_f32 s23, s21
	s_wait_alu 0xfffe
	s_delay_alu instid0(SALU_CYCLE_1) | instskip(SKIP_1) | instid1(SALU_CYCLE_2)
	s_cvt_u32_f32 s22, s2
	s_wait_alu 0xfffe
	s_mul_u64 s[26:27], s[24:25], s[22:23]
	s_wait_alu 0xfffe
	s_mul_hi_u32 s29, s22, s27
	s_mul_i32 s28, s22, s27
	s_mul_hi_u32 s2, s22, s26
	s_mul_i32 s30, s23, s26
	s_wait_alu 0xfffe
	s_add_nc_u64 s[28:29], s[2:3], s[28:29]
	s_mul_hi_u32 s21, s23, s26
	s_mul_hi_u32 s31, s23, s27
	s_add_co_u32 s2, s28, s30
	s_wait_alu 0xfffe
	s_add_co_ci_u32 s2, s29, s21
	s_mul_i32 s26, s23, s27
	s_add_co_ci_u32 s27, s31, 0
	s_wait_alu 0xfffe
	s_add_nc_u64 s[26:27], s[2:3], s[26:27]
	s_wait_alu 0xfffe
	v_add_co_u32 v4, s2, s22, s26
	s_delay_alu instid0(VALU_DEP_1) | instskip(SKIP_1) | instid1(VALU_DEP_1)
	s_cmp_lg_u32 s2, 0
	s_add_co_ci_u32 s23, s23, s27
	v_readfirstlane_b32 s22, v4
	s_wait_alu 0xfffe
	s_delay_alu instid0(VALU_DEP_1)
	s_mul_u64 s[24:25], s[24:25], s[22:23]
	s_wait_alu 0xfffe
	s_mul_hi_u32 s27, s22, s25
	s_mul_i32 s26, s22, s25
	s_mul_hi_u32 s2, s22, s24
	s_mul_i32 s28, s23, s24
	s_wait_alu 0xfffe
	s_add_nc_u64 s[26:27], s[2:3], s[26:27]
	s_mul_hi_u32 s21, s23, s24
	s_mul_hi_u32 s22, s23, s25
	s_wait_alu 0xfffe
	s_add_co_u32 s2, s26, s28
	s_add_co_ci_u32 s2, s27, s21
	s_mul_i32 s24, s23, s25
	s_add_co_ci_u32 s25, s22, 0
	s_wait_alu 0xfffe
	s_add_nc_u64 s[24:25], s[2:3], s[24:25]
	s_wait_alu 0xfffe
	v_add_co_u32 v4, s2, v4, s24
	s_delay_alu instid0(VALU_DEP_1) | instskip(SKIP_1) | instid1(VALU_DEP_1)
	s_cmp_lg_u32 s2, 0
	s_add_co_ci_u32 s2, s23, s25
	v_mul_hi_u32 v13, v5, v4
	s_wait_alu 0xfffe
	v_mad_co_u64_u32 v[7:8], null, v5, s2, 0
	v_mad_co_u64_u32 v[9:10], null, v6, v4, 0
	;; [unrolled: 1-line block ×3, first 2 shown]
	s_delay_alu instid0(VALU_DEP_3) | instskip(SKIP_1) | instid1(VALU_DEP_4)
	v_add_co_u32 v4, vcc_lo, v13, v7
	s_wait_alu 0xfffd
	v_add_co_ci_u32_e32 v7, vcc_lo, 0, v8, vcc_lo
	s_delay_alu instid0(VALU_DEP_2) | instskip(SKIP_1) | instid1(VALU_DEP_2)
	v_add_co_u32 v4, vcc_lo, v4, v9
	s_wait_alu 0xfffd
	v_add_co_ci_u32_e32 v4, vcc_lo, v7, v10, vcc_lo
	s_wait_alu 0xfffd
	v_add_co_ci_u32_e32 v7, vcc_lo, 0, v12, vcc_lo
	s_delay_alu instid0(VALU_DEP_2) | instskip(SKIP_1) | instid1(VALU_DEP_2)
	v_add_co_u32 v4, vcc_lo, v4, v11
	s_wait_alu 0xfffd
	v_add_co_ci_u32_e32 v9, vcc_lo, 0, v7, vcc_lo
	s_delay_alu instid0(VALU_DEP_2) | instskip(SKIP_1) | instid1(VALU_DEP_3)
	v_mul_lo_u32 v10, s19, v4
	v_mad_co_u64_u32 v[7:8], null, s18, v4, 0
	v_mul_lo_u32 v11, s18, v9
	s_delay_alu instid0(VALU_DEP_2) | instskip(NEXT) | instid1(VALU_DEP_2)
	v_sub_co_u32 v7, vcc_lo, v5, v7
	v_add3_u32 v8, v8, v11, v10
	s_delay_alu instid0(VALU_DEP_1) | instskip(SKIP_1) | instid1(VALU_DEP_1)
	v_sub_nc_u32_e32 v10, v6, v8
	s_wait_alu 0xfffd
	v_subrev_co_ci_u32_e64 v10, s2, s19, v10, vcc_lo
	v_add_co_u32 v11, s2, v4, 2
	s_wait_alu 0xf1ff
	v_add_co_ci_u32_e64 v12, s2, 0, v9, s2
	v_sub_co_u32 v13, s2, v7, s18
	v_sub_co_ci_u32_e32 v8, vcc_lo, v6, v8, vcc_lo
	s_wait_alu 0xf1ff
	v_subrev_co_ci_u32_e64 v10, s2, 0, v10, s2
	s_delay_alu instid0(VALU_DEP_3) | instskip(NEXT) | instid1(VALU_DEP_3)
	v_cmp_le_u32_e32 vcc_lo, s18, v13
	v_cmp_eq_u32_e64 s2, s19, v8
	s_wait_alu 0xfffd
	v_cndmask_b32_e64 v13, 0, -1, vcc_lo
	v_cmp_le_u32_e32 vcc_lo, s19, v10
	s_wait_alu 0xfffd
	v_cndmask_b32_e64 v14, 0, -1, vcc_lo
	v_cmp_le_u32_e32 vcc_lo, s18, v7
	;; [unrolled: 3-line block ×3, first 2 shown]
	s_wait_alu 0xfffd
	v_cndmask_b32_e64 v15, 0, -1, vcc_lo
	v_cmp_eq_u32_e32 vcc_lo, s19, v10
	s_wait_alu 0xf1ff
	s_delay_alu instid0(VALU_DEP_2)
	v_cndmask_b32_e64 v7, v15, v7, s2
	s_wait_alu 0xfffd
	v_cndmask_b32_e32 v10, v14, v13, vcc_lo
	v_add_co_u32 v13, vcc_lo, v4, 1
	s_wait_alu 0xfffd
	v_add_co_ci_u32_e32 v14, vcc_lo, 0, v9, vcc_lo
	s_delay_alu instid0(VALU_DEP_3) | instskip(SKIP_2) | instid1(VALU_DEP_3)
	v_cmp_ne_u32_e32 vcc_lo, 0, v10
	s_wait_alu 0xfffd
	v_cndmask_b32_e32 v10, v13, v11, vcc_lo
	v_cndmask_b32_e32 v8, v14, v12, vcc_lo
	v_cmp_ne_u32_e32 vcc_lo, 0, v7
	s_wait_alu 0xfffd
	s_delay_alu instid0(VALU_DEP_2)
	v_dual_cndmask_b32 v7, v4, v10 :: v_dual_cndmask_b32 v8, v9, v8
.LBB0_4:                                ;   in Loop: Header=BB0_2 Depth=1
	s_wait_alu 0xfffe
	s_and_not1_saveexec_b32 s2, s20
	s_cbranch_execz .LBB0_6
; %bb.5:                                ;   in Loop: Header=BB0_2 Depth=1
	v_cvt_f32_u32_e32 v4, s18
	s_sub_co_i32 s20, 0, s18
	s_delay_alu instid0(VALU_DEP_1) | instskip(NEXT) | instid1(TRANS32_DEP_1)
	v_rcp_iflag_f32_e32 v4, v4
	v_mul_f32_e32 v4, 0x4f7ffffe, v4
	s_delay_alu instid0(VALU_DEP_1) | instskip(SKIP_1) | instid1(VALU_DEP_1)
	v_cvt_u32_f32_e32 v4, v4
	s_wait_alu 0xfffe
	v_mul_lo_u32 v7, s20, v4
	s_delay_alu instid0(VALU_DEP_1) | instskip(NEXT) | instid1(VALU_DEP_1)
	v_mul_hi_u32 v7, v4, v7
	v_add_nc_u32_e32 v4, v4, v7
	s_delay_alu instid0(VALU_DEP_1) | instskip(NEXT) | instid1(VALU_DEP_1)
	v_mul_hi_u32 v4, v5, v4
	v_mul_lo_u32 v7, v4, s18
	v_add_nc_u32_e32 v8, 1, v4
	s_delay_alu instid0(VALU_DEP_2) | instskip(NEXT) | instid1(VALU_DEP_1)
	v_sub_nc_u32_e32 v7, v5, v7
	v_subrev_nc_u32_e32 v9, s18, v7
	v_cmp_le_u32_e32 vcc_lo, s18, v7
	s_wait_alu 0xfffd
	s_delay_alu instid0(VALU_DEP_2) | instskip(NEXT) | instid1(VALU_DEP_1)
	v_dual_cndmask_b32 v7, v7, v9 :: v_dual_cndmask_b32 v4, v4, v8
	v_cmp_le_u32_e32 vcc_lo, s18, v7
	s_delay_alu instid0(VALU_DEP_2) | instskip(SKIP_1) | instid1(VALU_DEP_1)
	v_add_nc_u32_e32 v8, 1, v4
	s_wait_alu 0xfffd
	v_dual_cndmask_b32 v7, v4, v8 :: v_dual_mov_b32 v8, v3
.LBB0_6:                                ;   in Loop: Header=BB0_2 Depth=1
	s_wait_alu 0xfffe
	s_or_b32 exec_lo, exec_lo, s2
	s_load_b64 s[20:21], s[12:13], 0x0
	s_delay_alu instid0(VALU_DEP_1)
	v_mul_lo_u32 v4, v8, s18
	v_mul_lo_u32 v11, v7, s19
	v_mad_co_u64_u32 v[9:10], null, v7, s18, 0
	s_add_nc_u64 s[14:15], s[14:15], 1
	s_add_nc_u64 s[12:13], s[12:13], 8
	s_wait_alu 0xfffe
	v_cmp_ge_u64_e64 s2, s[14:15], s[6:7]
	s_add_nc_u64 s[16:17], s[16:17], 8
	s_delay_alu instid0(VALU_DEP_2) | instskip(NEXT) | instid1(VALU_DEP_3)
	v_add3_u32 v4, v10, v11, v4
	v_sub_co_u32 v5, vcc_lo, v5, v9
	s_wait_alu 0xfffd
	s_delay_alu instid0(VALU_DEP_2) | instskip(SKIP_3) | instid1(VALU_DEP_2)
	v_sub_co_ci_u32_e32 v4, vcc_lo, v6, v4, vcc_lo
	s_and_b32 vcc_lo, exec_lo, s2
	s_wait_kmcnt 0x0
	v_mul_lo_u32 v6, s21, v5
	v_mul_lo_u32 v4, s20, v4
	v_mad_co_u64_u32 v[1:2], null, s20, v5, v[1:2]
	s_delay_alu instid0(VALU_DEP_1)
	v_add3_u32 v2, v6, v2, v4
	s_wait_alu 0xfffe
	s_cbranch_vccnz .LBB0_9
; %bb.7:                                ;   in Loop: Header=BB0_2 Depth=1
	v_dual_mov_b32 v5, v7 :: v_dual_mov_b32 v6, v8
	s_branch .LBB0_2
.LBB0_8:
	v_dual_mov_b32 v8, v6 :: v_dual_mov_b32 v7, v5
.LBB0_9:
	s_lshl_b64 s[2:3], s[6:7], 3
	v_mul_hi_u32_u24_e32 v3, 0xca4588, v0
	s_wait_alu 0xfffe
	s_add_nc_u64 s[2:3], s[10:11], s[2:3]
	s_load_b64 s[2:3], s[2:3], 0x0
	s_load_b64 s[0:1], s[0:1], 0x20
	v_mul_u32_u24_e32 v3, 0x144, v3
	s_delay_alu instid0(VALU_DEP_1) | instskip(NEXT) | instid1(VALU_DEP_1)
	v_sub_nc_u32_e32 v64, v0, v3
	v_lshl_add_u32 v68, v64, 4, 0
	s_wait_kmcnt 0x0
	v_mul_lo_u32 v4, s2, v8
	v_mul_lo_u32 v5, s3, v7
	v_mad_co_u64_u32 v[1:2], null, s2, v7, v[1:2]
	v_cmp_gt_u64_e32 vcc_lo, s[0:1], v[7:8]
	s_delay_alu instid0(VALU_DEP_2) | instskip(NEXT) | instid1(VALU_DEP_1)
	v_add3_u32 v2, v5, v2, v4
	v_lshlrev_b64_e32 v[66:67], 4, v[1:2]
	s_and_saveexec_b32 s1, vcc_lo
	s_cbranch_execz .LBB0_11
; %bb.10:
	v_mov_b32_e32 v65, 0
	s_delay_alu instid0(VALU_DEP_2) | instskip(SKIP_2) | instid1(VALU_DEP_3)
	v_add_co_u32 v2, s0, s8, v66
	s_wait_alu 0xf1ff
	v_add_co_ci_u32_e64 v3, s0, s9, v67, s0
	v_lshlrev_b64_e32 v[0:1], 4, v[64:65]
	s_delay_alu instid0(VALU_DEP_1) | instskip(SKIP_1) | instid1(VALU_DEP_2)
	v_add_co_u32 v44, s0, v2, v0
	s_wait_alu 0xf1ff
	v_add_co_ci_u32_e64 v45, s0, v3, v1, s0
	s_clause 0xb
	global_load_b128 v[0:3], v[44:45], off offset:5184
	global_load_b128 v[4:7], v[44:45], off offset:10368
	;; [unrolled: 1-line block ×10, first 2 shown]
	global_load_b128 v[40:43], v[44:45], off
	global_load_b128 v[44:47], v[44:45], off offset:57024
	s_wait_loadcnt 0xb
	ds_store_b128 v68, v[0:3] offset:5184
	s_wait_loadcnt 0xa
	ds_store_b128 v68, v[4:7] offset:10368
	;; [unrolled: 2-line block ×10, first 2 shown]
	s_wait_loadcnt 0x1
	ds_store_b128 v68, v[40:43]
	s_wait_loadcnt 0x0
	ds_store_b128 v68, v[44:47] offset:57024
.LBB0_11:
	s_wait_alu 0xfffe
	s_or_b32 exec_lo, exec_lo, s1
	global_wb scope:SCOPE_SE
	s_wait_dscnt 0x0
	s_barrier_signal -1
	s_barrier_wait -1
	global_inv scope:SCOPE_SE
	ds_load_b128 v[4:7], v68 offset:3888
	ds_load_b128 v[20:23], v68 offset:7776
	;; [unrolled: 1-line block ×14, first 2 shown]
	ds_load_b128 v[28:31], v68
	ds_load_b128 v[52:55], v68 offset:58320
	s_mov_b32 s6, exec_lo
	global_wb scope:SCOPE_SE
	s_wait_dscnt 0x0
	s_barrier_signal -1
	s_barrier_wait -1
	global_inv scope:SCOPE_SE
	v_cmpx_gt_u32_e32 0xf3, v64
	s_cbranch_execz .LBB0_13
; %bb.12:
	v_add_f64_e64 v[34:35], v[30:31], -v[34:35]
	v_add_f64_e64 v[36:37], v[0:1], -v[36:37]
	;; [unrolled: 1-line block ×16, first 2 shown]
	s_mov_b32 s0, 0x667f3bcd
	s_mov_b32 s1, 0x3fe6a09e
	;; [unrolled: 1-line block ×3, first 2 shown]
	s_wait_alu 0xfffe
	s_mov_b32 s2, s0
	s_mov_b32 s10, 0xcf328d46
	;; [unrolled: 1-line block ×9, first 2 shown]
	v_mad_u32_u24 v65, 0xf0, v64, v68
	v_fma_f64 v[30:31], v[30:31], 2.0, -v[34:35]
	v_add_f64_e32 v[69:70], v[34:35], v[36:37]
	v_fma_f64 v[22:23], v[22:23], 2.0, -v[58:59]
	v_add_f64_e32 v[71:72], v[58:59], v[60:61]
	v_fma_f64 v[20:21], v[20:21], 2.0, -v[56:57]
	v_add_f64_e64 v[73:74], v[56:57], -v[62:63]
	v_fma_f64 v[24:25], v[24:25], 2.0, -v[60:61]
	v_add_f64_e32 v[75:76], v[42:43], v[44:45]
	v_fma_f64 v[26:27], v[26:27], 2.0, -v[62:63]
	v_add_f64_e32 v[77:78], v[50:51], v[52:53]
	v_fma_f64 v[8:9], v[8:9], 2.0, -v[48:49]
	v_add_f64_e64 v[79:80], v[48:49], -v[54:55]
	v_fma_f64 v[4:5], v[4:5], 2.0, -v[40:41]
	v_add_f64_e64 v[81:82], v[40:41], -v[46:47]
	;; [unrolled: 2-line block ×3, first 2 shown]
	v_fma_f64 v[2:3], v[2:3], 2.0, -v[38:39]
	v_fma_f64 v[16:17], v[16:17], 2.0, -v[52:53]
	;; [unrolled: 1-line block ×11, first 2 shown]
	v_add_f64_e64 v[24:25], v[20:21], -v[24:25]
	v_fma_f64 v[42:43], v[42:43], 2.0, -v[75:76]
	v_add_f64_e64 v[26:27], v[22:23], -v[26:27]
	v_fma_f64 v[44:45], v[50:51], 2.0, -v[77:78]
	v_fma_f64 v[50:51], v[77:78], s[0:1], v[75:76]
	v_fma_f64 v[46:47], v[48:49], 2.0, -v[79:80]
	v_fma_f64 v[48:49], v[71:72], s[0:1], v[69:70]
	v_fma_f64 v[40:41], v[40:41], 2.0, -v[81:82]
	v_add_f64_e64 v[12:13], v[4:5], -v[12:13]
	v_fma_f64 v[32:33], v[32:33], 2.0, -v[83:84]
	v_add_f64_e64 v[2:3], v[30:31], -v[2:3]
	v_add_f64_e64 v[16:17], v[8:9], -v[16:17]
	v_fma_f64 v[52:53], v[79:80], s[0:1], v[81:82]
	v_fma_f64 v[54:55], v[73:74], s[0:1], v[83:84]
	v_add_f64_e64 v[14:15], v[6:7], -v[14:15]
	v_add_f64_e64 v[18:19], v[10:11], -v[18:19]
	;; [unrolled: 1-line block ×3, first 2 shown]
	s_wait_alu 0xfffe
	v_fma_f64 v[56:57], v[36:37], s[2:3], v[34:35]
	v_fma_f64 v[20:21], v[20:21], 2.0, -v[24:25]
	v_fma_f64 v[22:23], v[22:23], 2.0, -v[26:27]
	v_fma_f64 v[58:59], v[44:45], s[2:3], v[42:43]
	v_fma_f64 v[50:51], v[79:80], s[0:1], v[50:51]
	;; [unrolled: 1-line block ×4, first 2 shown]
	v_fma_f64 v[4:5], v[4:5], 2.0, -v[12:13]
	v_fma_f64 v[62:63], v[38:39], s[2:3], v[32:33]
	v_fma_f64 v[30:31], v[30:31], 2.0, -v[2:3]
	v_fma_f64 v[8:9], v[8:9], 2.0, -v[16:17]
	v_fma_f64 v[52:53], v[77:78], s[2:3], v[52:53]
	v_fma_f64 v[54:55], v[71:72], s[2:3], v[54:55]
	v_add_f64_e32 v[71:72], v[2:3], v[24:25]
	v_add_f64_e32 v[16:17], v[14:15], v[16:17]
	v_add_f64_e64 v[73:74], v[12:13], -v[18:19]
	v_add_f64_e64 v[77:78], v[0:1], -v[26:27]
	v_fma_f64 v[26:27], v[28:29], 2.0, -v[0:1]
	v_fma_f64 v[6:7], v[6:7], 2.0, -v[14:15]
	;; [unrolled: 1-line block ×3, first 2 shown]
	v_fma_f64 v[56:57], v[38:39], s[0:1], v[56:57]
	v_fma_f64 v[24:25], v[46:47], s[0:1], v[58:59]
	v_fma_f64 v[46:47], v[69:70], 2.0, -v[48:49]
	v_fma_f64 v[28:29], v[44:45], s[2:3], v[60:61]
	v_fma_f64 v[58:59], v[36:37], s[2:3], v[62:63]
	v_add_f64_e64 v[44:45], v[30:31], -v[22:23]
	v_fma_f64 v[22:23], v[75:76], 2.0, -v[50:51]
	v_fma_f64 v[18:19], v[81:82], 2.0, -v[52:53]
	;; [unrolled: 1-line block ×7, first 2 shown]
	v_add_f64_e64 v[8:9], v[4:5], -v[8:9]
	v_add_f64_e64 v[75:76], v[26:27], -v[20:21]
	;; [unrolled: 1-line block ×3, first 2 shown]
	v_fma_f64 v[10:11], v[16:17], s[0:1], v[71:72]
	v_fma_f64 v[20:21], v[73:74], s[0:1], v[77:78]
	;; [unrolled: 1-line block ×3, first 2 shown]
	v_fma_f64 v[79:80], v[34:35], 2.0, -v[56:57]
	v_fma_f64 v[34:35], v[42:43], 2.0, -v[24:25]
	;; [unrolled: 1-line block ×3, first 2 shown]
	v_fma_f64 v[40:41], v[24:25], s[12:13], v[56:57]
	v_fma_f64 v[81:82], v[32:33], 2.0, -v[58:59]
	v_fma_f64 v[32:33], v[52:53], s[10:11], v[54:55]
	v_fma_f64 v[83:84], v[22:23], s[14:15], v[46:47]
	;; [unrolled: 1-line block ×4, first 2 shown]
	v_fma_f64 v[91:92], v[30:31], 2.0, -v[44:45]
	v_fma_f64 v[85:86], v[36:37], s[2:3], v[60:61]
	v_fma_f64 v[87:88], v[12:13], s[2:3], v[62:63]
	v_fma_f64 v[95:96], v[4:5], 2.0, -v[8:9]
	v_fma_f64 v[93:94], v[26:27], 2.0, -v[75:76]
	;; [unrolled: 1-line block ×3, first 2 shown]
	v_fma_f64 v[6:7], v[73:74], s[0:1], v[10:11]
	v_fma_f64 v[4:5], v[16:17], s[2:3], v[20:21]
	;; [unrolled: 1-line block ×3, first 2 shown]
	v_add_f64_e32 v[10:11], v[44:45], v[8:9]
	v_add_f64_e64 v[8:9], v[75:76], -v[14:15]
	v_fma_f64 v[97:98], v[34:35], s[16:17], v[79:80]
	v_fma_f64 v[99:100], v[38:39], s[16:17], v[81:82]
	;; [unrolled: 1-line block ×9, first 2 shown]
	v_add_f64_e64 v[24:25], v[93:94], -v[95:96]
	v_add_f64_e64 v[26:27], v[91:92], -v[30:31]
	v_fma_f64 v[36:37], v[77:78], 2.0, -v[4:5]
	v_fma_f64 v[42:43], v[44:45], 2.0, -v[10:11]
	;; [unrolled: 1-line block ×3, first 2 shown]
	v_fma_f64 v[30:31], v[38:39], s[12:13], v[97:98]
	v_fma_f64 v[38:39], v[71:72], 2.0, -v[6:7]
	v_fma_f64 v[28:29], v[34:35], s[14:15], v[99:100]
	v_fma_f64 v[34:35], v[48:49], 2.0, -v[2:3]
	v_fma_f64 v[32:33], v[54:55], 2.0, -v[0:1]
	;; [unrolled: 1-line block ×12, first 2 shown]
	ds_store_b128 v65, v[36:39] offset:96
	ds_store_b128 v65, v[32:35] offset:112
	;; [unrolled: 1-line block ×12, first 2 shown]
	ds_store_b128 v65, v[56:59]
	ds_store_b128 v65, v[60:63] offset:16
	ds_store_b128 v65, v[4:7] offset:224
	;; [unrolled: 1-line block ×3, first 2 shown]
.LBB0_13:
	s_wait_alu 0xfffe
	s_or_b32 exec_lo, exec_lo, s6
	v_and_b32_e32 v3, 15, v64
	v_add_nc_u32_e32 v6, 0x144, v64
	global_wb scope:SCOPE_SE
	s_wait_dscnt 0x0
	s_barrier_signal -1
	s_barrier_wait -1
	v_lshlrev_b32_e32 v0, 5, v3
	v_and_b32_e32 v7, 15, v6
	global_inv scope:SCOPE_SE
	v_add_nc_u32_e32 v5, 0x288, v64
	s_mov_b32 s2, 0xe8584caa
	s_clause 0x1
	global_load_b128 v[8:11], v0, s[4:5]
	global_load_b128 v[12:15], v0, s[4:5] offset:16
	v_lshlrev_b32_e32 v1, 5, v7
	v_add_nc_u32_e32 v0, 0x3cc, v64
	v_and_b32_e32 v65, 15, v5
	s_mov_b32 s3, 0x3febb67a
	s_mov_b32 s7, 0xbfebb67a
	s_clause 0x1
	global_load_b128 v[16:19], v1, s[4:5]
	global_load_b128 v[20:23], v1, s[4:5] offset:16
	v_and_b32_e32 v97, 15, v0
	v_lshlrev_b32_e32 v1, 5, v65
	s_wait_alu 0xfffe
	s_mov_b32 s6, s2
	v_cmp_gt_u32_e64 s0, 0x6c, v64
	s_mov_b32 s1, exec_lo
	v_lshlrev_b32_e32 v2, 5, v97
	s_clause 0x3
	global_load_b128 v[24:27], v1, s[4:5]
	global_load_b128 v[28:31], v1, s[4:5] offset:16
	global_load_b128 v[32:35], v2, s[4:5]
	global_load_b128 v[36:39], v2, s[4:5] offset:16
	ds_load_b128 v[40:43], v68 offset:20736
	ds_load_b128 v[44:47], v68 offset:41472
	;; [unrolled: 1-line block ×9, first 2 shown]
	s_wait_loadcnt_dscnt 0x708
	v_mul_f64_e32 v[1:2], v[42:43], v[10:11]
	v_mul_f64_e32 v[10:11], v[40:41], v[10:11]
	s_wait_loadcnt_dscnt 0x607
	v_mul_f64_e32 v[81:82], v[46:47], v[14:15]
	v_mul_f64_e32 v[14:15], v[44:45], v[14:15]
	;; [unrolled: 3-line block ×3, first 2 shown]
	s_wait_loadcnt_dscnt 0x402
	v_mul_f64_e32 v[85:86], v[71:72], v[22:23]
	v_fma_f64 v[1:2], v[40:41], v[8:9], -v[1:2]
	v_fma_f64 v[40:41], v[42:43], v[8:9], v[10:11]
	v_mul_f64_e32 v[8:9], v[69:70], v[22:23]
	s_wait_loadcnt 0x3
	v_mul_f64_e32 v[10:11], v[62:63], v[26:27]
	v_mul_f64_e32 v[22:23], v[60:61], v[26:27]
	s_wait_loadcnt_dscnt 0x201
	v_mul_f64_e32 v[26:27], v[75:76], v[30:31]
	v_fma_f64 v[42:43], v[44:45], v[12:13], -v[81:82]
	v_fma_f64 v[44:45], v[46:47], v[12:13], v[14:15]
	v_mul_f64_e32 v[12:13], v[73:74], v[30:31]
	s_wait_loadcnt 0x1
	v_mul_f64_e32 v[14:15], v[58:59], v[34:35]
	v_mul_f64_e32 v[30:31], v[56:57], v[34:35]
	s_wait_loadcnt_dscnt 0x0
	v_mul_f64_e32 v[34:35], v[79:80], v[38:39]
	v_fma_f64 v[46:47], v[48:49], v[16:17], -v[83:84]
	v_fma_f64 v[48:49], v[50:51], v[16:17], v[18:19]
	v_mul_f64_e32 v[16:17], v[77:78], v[38:39]
	v_fma_f64 v[38:39], v[69:70], v[20:21], -v[85:86]
	v_fma_f64 v[20:21], v[71:72], v[20:21], v[8:9]
	v_fma_f64 v[50:51], v[60:61], v[24:25], -v[10:11]
	v_fma_f64 v[22:23], v[62:63], v[24:25], v[22:23]
	v_fma_f64 v[24:25], v[73:74], v[28:29], -v[26:27]
	ds_load_b128 v[8:11], v68
	v_fma_f64 v[26:27], v[75:76], v[28:29], v[12:13]
	v_fma_f64 v[28:29], v[56:57], v[32:33], -v[14:15]
	v_fma_f64 v[30:31], v[58:59], v[32:33], v[30:31]
	v_fma_f64 v[34:35], v[77:78], v[36:37], -v[34:35]
	v_add_f64_e32 v[56:57], v[40:41], v[44:45]
	v_add_f64_e64 v[77:78], v[40:41], -v[44:45]
	v_fma_f64 v[32:33], v[79:80], v[36:37], v[16:17]
	v_add_f64_e32 v[36:37], v[1:2], v[42:43]
	v_add_f64_e32 v[58:59], v[46:47], v[38:39]
	ds_load_b128 v[12:15], v68 offset:5184
	ds_load_b128 v[16:19], v68 offset:10368
	global_wb scope:SCOPE_SE
	s_wait_dscnt 0x0
	s_barrier_signal -1
	s_barrier_wait -1
	global_inv scope:SCOPE_SE
	v_add_f64_e32 v[75:76], v[8:9], v[1:2]
	v_add_f64_e32 v[40:41], v[10:11], v[40:41]
	;; [unrolled: 1-line block ×4, first 2 shown]
	v_add_f64_e64 v[46:47], v[46:47], -v[38:39]
	v_add_f64_e32 v[60:61], v[48:49], v[20:21]
	v_add_f64_e32 v[83:84], v[16:17], v[50:51]
	;; [unrolled: 1-line block ×4, first 2 shown]
	v_add_f64_e64 v[48:49], v[48:49], -v[20:21]
	v_add_f64_e64 v[50:51], v[50:51], -v[24:25]
	v_add_f64_e32 v[69:70], v[22:23], v[26:27]
	v_add_f64_e32 v[87:88], v[52:53], v[28:29]
	;; [unrolled: 1-line block ×4, first 2 shown]
	v_fma_f64 v[56:57], v[56:57], -0.5, v[10:11]
	v_add_f64_e64 v[91:92], v[22:23], -v[26:27]
	v_add_f64_e32 v[73:74], v[30:31], v[32:33]
	v_fma_f64 v[8:9], v[36:37], -0.5, v[8:9]
	v_add_f64_e64 v[36:37], v[1:2], -v[42:43]
	v_fma_f64 v[58:59], v[58:59], -0.5, v[12:13]
	v_add_f64_e64 v[93:94], v[30:31], -v[32:33]
	v_add_f64_e64 v[95:96], v[28:29], -v[34:35]
	v_and_b32_e32 v2, 0xffff, v64
	v_lshrrev_b32_e32 v1, 4, v64
	v_lshrrev_b32_e32 v10, 4, v5
	s_delay_alu instid0(VALU_DEP_3)
	v_mul_u32_u24_e32 v4, 0xaaab, v2
	v_add_f64_e32 v[11:12], v[75:76], v[42:43]
	v_mul_u32_u24_e32 v2, 0xe38f, v2
	v_fma_f64 v[60:61], v[60:61], -0.5, v[14:15]
	v_add_f64_e32 v[13:14], v[40:41], v[44:45]
	v_fma_f64 v[62:63], v[62:63], -0.5, v[16:17]
	v_add_f64_e32 v[15:16], v[79:80], v[38:39]
	;; [unrolled: 2-line block ×3, first 2 shown]
	v_add_f64_e32 v[21:22], v[85:86], v[26:27]
	v_fma_f64 v[71:72], v[71:72], -0.5, v[52:53]
	v_add_f64_e32 v[19:20], v[83:84], v[24:25]
	v_add_f64_e32 v[23:24], v[87:88], v[34:35]
	v_fma_f64 v[73:74], v[73:74], -0.5, v[54:55]
	v_fma_f64 v[27:28], v[77:78], s[2:3], v[8:9]
	s_wait_alu 0xfffe
	v_fma_f64 v[29:30], v[36:37], s[6:7], v[56:57]
	v_add_f64_e32 v[25:26], v[89:90], v[32:33]
	v_fma_f64 v[31:32], v[77:78], s[6:7], v[8:9]
	v_fma_f64 v[33:34], v[36:37], s[2:3], v[56:57]
	;; [unrolled: 1-line block ×4, first 2 shown]
	v_mul_u32_u24_e32 v8, 48, v1
	v_lshrrev_b32_e32 v9, 4, v6
	v_lshrrev_b32_e32 v1, 21, v4
	;; [unrolled: 1-line block ×3, first 2 shown]
	v_and_b32_e32 v4, 0xffff, v6
	v_or_b32_e32 v3, v8, v3
	v_mul_u32_u24_e32 v8, 48, v9
	v_mul_u32_u24_e32 v9, 48, v10
	v_mul_lo_u16 v10, v1, 48
	v_mul_u32_u24_e32 v59, 48, v59
	v_lshl_add_u32 v3, v3, 4, 0
	v_or_b32_e32 v7, v8, v7
	v_or_b32_e32 v8, v9, v65
	v_sub_nc_u16 v10, v64, v10
	v_or_b32_e32 v9, v59, v97
	v_mul_u32_u24_e32 v1, 0x900, v1
	v_lshl_add_u32 v7, v7, 4, 0
	v_lshl_add_u32 v8, v8, 4, 0
	v_fma_f64 v[37:38], v[46:47], s[6:7], v[60:61]
	v_fma_f64 v[41:42], v[46:47], s[2:3], v[60:61]
	v_and_b32_e32 v10, 0xffff, v10
	v_fma_f64 v[43:44], v[91:92], s[2:3], v[62:63]
	v_fma_f64 v[47:48], v[91:92], s[6:7], v[62:63]
	v_lshl_add_u32 v9, v9, 4, 0
	v_fma_f64 v[45:46], v[50:51], s[6:7], v[69:70]
	v_fma_f64 v[49:50], v[50:51], s[2:3], v[69:70]
	v_lshlrev_b32_e32 v59, 5, v10
	v_fma_f64 v[51:52], v[93:94], s[2:3], v[71:72]
	v_fma_f64 v[55:56], v[93:94], s[6:7], v[71:72]
	;; [unrolled: 1-line block ×4, first 2 shown]
	ds_store_b128 v3, v[11:14]
	ds_store_b128 v3, v[27:30] offset:256
	ds_store_b128 v3, v[31:34] offset:512
	ds_store_b128 v7, v[15:18]
	ds_store_b128 v7, v[35:38] offset:256
	ds_store_b128 v7, v[39:42] offset:512
	ds_store_b128 v8, v[19:22]
	ds_store_b128 v8, v[43:46] offset:256
	ds_store_b128 v8, v[47:50] offset:512
	ds_store_b128 v9, v[23:26]
	ds_store_b128 v9, v[51:54] offset:256
	ds_store_b128 v9, v[55:58] offset:512
	global_wb scope:SCOPE_SE
	s_wait_dscnt 0x0
	s_barrier_signal -1
	s_barrier_wait -1
	global_inv scope:SCOPE_SE
	s_clause 0x1
	global_load_b128 v[12:15], v59, s[4:5] offset:512
	global_load_b128 v[16:19], v59, s[4:5] offset:528
	v_mul_u32_u24_e32 v3, 0xaaab, v4
	v_and_b32_e32 v7, 0xffff, v5
	v_and_b32_e32 v9, 0xffff, v0
	s_delay_alu instid0(VALU_DEP_3) | instskip(NEXT) | instid1(VALU_DEP_1)
	v_lshrrev_b32_e32 v8, 21, v3
	v_mul_lo_u16 v3, v8, 48
	s_delay_alu instid0(VALU_DEP_1) | instskip(NEXT) | instid1(VALU_DEP_1)
	v_sub_nc_u16 v3, v6, v3
	v_and_b32_e32 v11, 0xffff, v3
	s_delay_alu instid0(VALU_DEP_1) | instskip(SKIP_4) | instid1(VALU_DEP_1)
	v_lshlrev_b32_e32 v3, 5, v11
	s_clause 0x1
	global_load_b128 v[20:23], v3, s[4:5] offset:512
	global_load_b128 v[24:27], v3, s[4:5] offset:528
	v_mul_u32_u24_e32 v3, 0xaaab, v7
	v_lshrrev_b32_e32 v65, 21, v3
	v_mul_u32_u24_e32 v3, 0xaaab, v9
	s_delay_alu instid0(VALU_DEP_2) | instskip(NEXT) | instid1(VALU_DEP_2)
	v_mul_lo_u16 v28, v65, 48
	v_lshrrev_b32_e32 v105, 21, v3
	s_delay_alu instid0(VALU_DEP_2) | instskip(NEXT) | instid1(VALU_DEP_2)
	v_sub_nc_u16 v3, v5, v28
	v_mul_lo_u16 v28, v105, 48
	s_delay_alu instid0(VALU_DEP_2) | instskip(NEXT) | instid1(VALU_DEP_2)
	v_and_b32_e32 v106, 0xffff, v3
	v_sub_nc_u16 v3, v0, v28
	s_delay_alu instid0(VALU_DEP_2) | instskip(NEXT) | instid1(VALU_DEP_2)
	v_lshlrev_b32_e32 v32, 5, v106
	v_and_b32_e32 v107, 0xffff, v3
	global_load_b128 v[28:31], v32, s[4:5] offset:512
	v_lshlrev_b32_e32 v3, 5, v107
	s_clause 0x2
	global_load_b128 v[32:35], v32, s[4:5] offset:528
	global_load_b128 v[36:39], v3, s[4:5] offset:512
	;; [unrolled: 1-line block ×3, first 2 shown]
	ds_load_b128 v[44:47], v68 offset:20736
	ds_load_b128 v[48:51], v68 offset:41472
	;; [unrolled: 1-line block ×7, first 2 shown]
	v_lshrrev_b32_e32 v3, 23, v2
	v_mul_u32_u24_e32 v2, 0xe38f, v4
	s_delay_alu instid0(VALU_DEP_1)
	v_lshrrev_b32_e32 v4, 23, v2
	s_wait_loadcnt_dscnt 0x706
	v_mul_f64_e32 v[77:78], v[46:47], v[14:15]
	v_mul_f64_e32 v[14:15], v[44:45], v[14:15]
	s_wait_loadcnt_dscnt 0x605
	v_mul_f64_e32 v[79:80], v[50:51], v[18:19]
	v_mul_f64_e32 v[18:19], v[48:49], v[18:19]
	;; [unrolled: 3-line block ×3, first 2 shown]
	v_fma_f64 v[44:45], v[44:45], v[12:13], -v[77:78]
	s_wait_loadcnt_dscnt 0x401
	v_mul_f64_e32 v[77:78], v[71:72], v[26:27]
	v_mul_f64_e32 v[26:27], v[69:70], v[26:27]
	v_fma_f64 v[46:47], v[46:47], v[12:13], v[14:15]
	ds_load_b128 v[12:15], v68 offset:51840
	v_fma_f64 v[48:49], v[48:49], v[16:17], -v[79:80]
	v_fma_f64 v[50:51], v[50:51], v[16:17], v[18:19]
	ds_load_b128 v[16:19], v68 offset:57024
	s_wait_loadcnt_dscnt 0x302
	v_mul_f64_e32 v[79:80], v[75:76], v[30:31]
	v_mul_f64_e32 v[30:31], v[73:74], v[30:31]
	s_wait_loadcnt_dscnt 0x201
	v_mul_f64_e32 v[83:84], v[14:15], v[34:35]
	v_fma_f64 v[56:57], v[56:57], v[20:21], -v[81:82]
	v_fma_f64 v[58:59], v[58:59], v[20:21], v[22:23]
	v_mul_f64_e32 v[20:21], v[12:13], v[34:35]
	s_wait_loadcnt 0x1
	v_mul_f64_e32 v[22:23], v[62:63], v[38:39]
	v_mul_f64_e32 v[34:35], v[60:61], v[38:39]
	s_wait_loadcnt_dscnt 0x0
	v_mul_f64_e32 v[38:39], v[18:19], v[42:43]
	v_fma_f64 v[69:70], v[69:70], v[24:25], -v[77:78]
	v_fma_f64 v[24:25], v[71:72], v[24:25], v[26:27]
	v_mul_f64_e32 v[26:27], v[16:17], v[42:43]
	v_fma_f64 v[42:43], v[73:74], v[28:29], -v[79:80]
	v_fma_f64 v[28:29], v[75:76], v[28:29], v[30:31]
	v_fma_f64 v[71:72], v[12:13], v[32:33], -v[83:84]
	v_fma_f64 v[30:31], v[14:15], v[32:33], v[20:21]
	;; [unrolled: 2-line block ×3, first 2 shown]
	v_fma_f64 v[38:39], v[16:17], v[40:41], -v[38:39]
	v_add_f64_e32 v[36:37], v[44:45], v[48:49]
	ds_load_b128 v[12:15], v68
	v_add_f64_e32 v[60:61], v[56:57], v[69:70]
	v_add_f64_e32 v[62:63], v[58:59], v[24:25]
	v_fma_f64 v[26:27], v[18:19], v[40:41], v[26:27]
	v_add_f64_e32 v[40:41], v[46:47], v[50:51]
	ds_load_b128 v[16:19], v68 offset:5184
	ds_load_b128 v[20:23], v68 offset:10368
	global_wb scope:SCOPE_SE
	s_wait_dscnt 0x0
	s_barrier_signal -1
	s_barrier_wait -1
	global_inv scope:SCOPE_SE
	v_add_f64_e32 v[81:82], v[12:13], v[44:45]
	v_add_f64_e32 v[83:84], v[14:15], v[46:47]
	v_add_f64_e64 v[46:47], v[46:47], -v[50:51]
	v_add_f64_e64 v[44:45], v[44:45], -v[48:49]
	v_add_f64_e32 v[85:86], v[16:17], v[56:57]
	v_add_f64_e32 v[87:88], v[18:19], v[58:59]
	;; [unrolled: 1-line block ×3, first 2 shown]
	v_add_f64_e64 v[58:59], v[58:59], -v[24:25]
	v_add_f64_e32 v[73:74], v[42:43], v[71:72]
	v_add_f64_e64 v[56:57], v[56:57], -v[69:70]
	v_add_f64_e32 v[89:90], v[20:21], v[42:43]
	;; [unrolled: 2-line block ×3, first 2 shown]
	v_add_f64_e32 v[93:94], v[52:53], v[32:33]
	v_add_f64_e64 v[97:98], v[28:29], -v[30:31]
	v_add_f64_e32 v[77:78], v[32:33], v[38:39]
	v_fma_f64 v[36:37], v[36:37], -0.5, v[12:13]
	v_add_f64_e32 v[95:96], v[54:55], v[34:35]
	v_fma_f64 v[60:61], v[60:61], -0.5, v[16:17]
	v_fma_f64 v[62:63], v[62:63], -0.5, v[18:19]
	v_add_f64_e32 v[79:80], v[34:35], v[26:27]
	v_fma_f64 v[40:41], v[40:41], -0.5, v[14:15]
	v_add_f64_e64 v[101:102], v[34:35], -v[26:27]
	v_add_f64_e64 v[103:104], v[32:33], -v[38:39]
	v_add_f64_e32 v[12:13], v[81:82], v[48:49]
	v_add_f64_e32 v[14:15], v[83:84], v[50:51]
	;; [unrolled: 1-line block ×4, first 2 shown]
	v_fma_f64 v[73:74], v[73:74], -0.5, v[20:21]
	v_add_f64_e32 v[20:21], v[89:90], v[71:72]
	v_fma_f64 v[75:76], v[75:76], -0.5, v[22:23]
	v_add_f64_e32 v[22:23], v[91:92], v[30:31]
	v_add_f64_e32 v[24:25], v[93:94], v[38:39]
	v_fma_f64 v[77:78], v[77:78], -0.5, v[52:53]
	v_fma_f64 v[28:29], v[46:47], s[2:3], v[36:37]
	v_fma_f64 v[32:33], v[46:47], s[6:7], v[36:37]
	;; [unrolled: 1-line block ×4, first 2 shown]
	v_fma_f64 v[79:80], v[79:80], -0.5, v[54:55]
	v_fma_f64 v[30:31], v[44:45], s[6:7], v[40:41]
	v_fma_f64 v[34:35], v[44:45], s[2:3], v[40:41]
	;; [unrolled: 1-line block ×4, first 2 shown]
	v_add_f64_e32 v[26:27], v[95:96], v[26:27]
	v_mul_lo_u16 v60, 0x90, v3
	v_mul_u32_u24_e32 v61, 0x900, v65
	v_mul_u32_u24_e32 v62, 0x900, v105
	v_lshlrev_b32_e32 v65, 4, v107
	v_mul_lo_u16 v63, 0x90, v4
	v_sub_nc_u16 v2, v64, v60
	v_mul_u32_u24_e32 v60, 0x900, v8
	s_delay_alu instid0(VALU_DEP_2) | instskip(SKIP_3) | instid1(VALU_DEP_4)
	v_and_b32_e32 v8, 0xffff, v2
	v_lshlrev_b32_e32 v2, 4, v10
	v_lshlrev_b32_e32 v10, 4, v11
	;; [unrolled: 1-line block ×4, first 2 shown]
	s_delay_alu instid0(VALU_DEP_4) | instskip(NEXT) | instid1(VALU_DEP_4)
	v_add3_u32 v1, 0, v1, v2
	v_add3_u32 v2, 0, v60, v10
	s_delay_alu instid0(VALU_DEP_4)
	v_add3_u32 v10, 0, v61, v11
	v_fma_f64 v[44:45], v[97:98], s[2:3], v[73:74]
	v_fma_f64 v[48:49], v[97:98], s[6:7], v[73:74]
	v_add3_u32 v11, 0, v62, v65
	v_lshlrev_b32_e32 v8, 4, v8
	v_fma_f64 v[46:47], v[99:100], s[6:7], v[75:76]
	v_fma_f64 v[50:51], v[99:100], s[2:3], v[75:76]
	;; [unrolled: 1-line block ×6, first 2 shown]
	ds_store_b128 v1, v[12:15]
	ds_store_b128 v1, v[28:31] offset:768
	ds_store_b128 v1, v[32:35] offset:1536
	ds_store_b128 v2, v[16:19]
	ds_store_b128 v2, v[36:39] offset:768
	ds_store_b128 v2, v[40:43] offset:1536
	;; [unrolled: 3-line block ×4, first 2 shown]
	global_wb scope:SCOPE_SE
	s_wait_dscnt 0x0
	s_barrier_signal -1
	s_barrier_wait -1
	global_inv scope:SCOPE_SE
	global_load_b128 v[11:14], v69, s[4:5] offset:2048
	v_sub_nc_u16 v1, v6, v63
	global_load_b128 v[15:18], v69, s[4:5] offset:2064
	v_mul_u32_u24_e32 v2, 0xe38f, v7
	v_and_b32_e32 v10, 0xffff, v1
	s_delay_alu instid0(VALU_DEP_2) | instskip(SKIP_1) | instid1(VALU_DEP_3)
	v_lshrrev_b32_e32 v63, 23, v2
	v_mul_u32_u24_e32 v2, 0xe38f, v9
	v_lshlrev_b32_e32 v1, 5, v10
	v_lshlrev_b32_e32 v10, 4, v10
	s_delay_alu instid0(VALU_DEP_4) | instskip(NEXT) | instid1(VALU_DEP_4)
	v_mul_lo_u16 v7, 0x90, v63
	v_lshrrev_b32_e32 v9, 23, v2
	global_load_b128 v[19:22], v1, s[4:5] offset:2048
	v_sub_nc_u16 v2, v5, v7
	v_mul_lo_u16 v7, 0x90, v9
	v_mul_u32_u24_e32 v9, 0x1b00, v9
	s_delay_alu instid0(VALU_DEP_3) | instskip(NEXT) | instid1(VALU_DEP_3)
	v_and_b32_e32 v65, 0xffff, v2
	v_sub_nc_u16 v2, v0, v7
	s_delay_alu instid0(VALU_DEP_2) | instskip(NEXT) | instid1(VALU_DEP_2)
	v_lshlrev_b32_e32 v7, 5, v65
	v_and_b32_e32 v103, 0xffff, v2
	s_clause 0x1
	global_load_b128 v[23:26], v1, s[4:5] offset:2064
	global_load_b128 v[27:30], v7, s[4:5] offset:2048
	v_lshlrev_b32_e32 v1, 5, v103
	s_clause 0x2
	global_load_b128 v[31:34], v7, s[4:5] offset:2064
	global_load_b128 v[35:38], v1, s[4:5] offset:2048
	;; [unrolled: 1-line block ×3, first 2 shown]
	ds_load_b128 v[43:46], v68 offset:20736
	ds_load_b128 v[47:50], v68 offset:41472
	;; [unrolled: 1-line block ×8, first 2 shown]
	v_add_nc_u32_e32 v7, 0xffffff94, v64
	s_wait_alu 0xf1ff
	s_delay_alu instid0(VALU_DEP_1)
	v_cndmask_b32_e64 v7, v7, v6, s0
	s_wait_loadcnt_dscnt 0x707
	v_mul_f64_e32 v[1:2], v[45:46], v[13:14]
	v_mul_f64_e32 v[13:14], v[43:44], v[13:14]
	s_wait_loadcnt_dscnt 0x606
	v_mul_f64_e32 v[81:82], v[49:50], v[17:18]
	v_mul_f64_e32 v[17:18], v[47:48], v[17:18]
	;; [unrolled: 3-line block ×3, first 2 shown]
	s_wait_loadcnt_dscnt 0x302
	v_mul_f64_e32 v[85:86], v[71:72], v[29:30]
	v_fma_f64 v[1:2], v[43:44], v[11:12], -v[1:2]
	v_fma_f64 v[43:44], v[45:46], v[11:12], v[13:14]
	ds_load_b128 v[11:14], v68 offset:57024
	s_wait_dscnt 0x2
	v_mul_f64_e32 v[45:46], v[75:76], v[25:26]
	v_mul_f64_e32 v[25:26], v[73:74], v[25:26]
	v_fma_f64 v[47:48], v[47:48], v[15:16], -v[81:82]
	v_fma_f64 v[49:50], v[49:50], v[15:16], v[17:18]
	v_mul_f64_e32 v[15:16], v[69:70], v[29:30]
	s_wait_loadcnt_dscnt 0x201
	v_mul_f64_e32 v[17:18], v[79:80], v[33:34]
	v_mul_f64_e32 v[29:30], v[77:78], v[33:34]
	s_wait_loadcnt 0x1
	v_mul_f64_e32 v[33:34], v[61:62], v[37:38]
	v_fma_f64 v[51:52], v[51:52], v[19:20], -v[83:84]
	v_fma_f64 v[53:54], v[53:54], v[19:20], v[21:22]
	v_mul_f64_e32 v[21:22], v[59:60], v[37:38]
	s_wait_loadcnt_dscnt 0x0
	v_mul_f64_e32 v[19:20], v[13:14], v[41:42]
	v_mul_f64_e32 v[37:38], v[11:12], v[41:42]
	v_fma_f64 v[41:42], v[73:74], v[23:24], -v[45:46]
	v_fma_f64 v[23:24], v[75:76], v[23:24], v[25:26]
	v_fma_f64 v[25:26], v[69:70], v[27:28], -v[85:86]
	v_add_f64_e64 v[95:96], v[1:2], -v[47:48]
	v_fma_f64 v[27:28], v[71:72], v[27:28], v[15:16]
	v_fma_f64 v[45:46], v[77:78], v[31:32], -v[17:18]
	v_fma_f64 v[29:30], v[79:80], v[31:32], v[29:30]
	v_fma_f64 v[31:32], v[59:60], v[35:36], -v[33:34]
	v_add_f64_e32 v[59:60], v[43:44], v[49:50]
	v_fma_f64 v[35:36], v[61:62], v[35:36], v[21:22]
	v_fma_f64 v[33:34], v[11:12], v[39:40], -v[19:20]
	v_fma_f64 v[37:38], v[13:14], v[39:40], v[37:38]
	v_add_f64_e32 v[39:40], v[1:2], v[47:48]
	ds_load_b128 v[11:14], v68
	ds_load_b128 v[15:18], v68 offset:5184
	ds_load_b128 v[19:22], v68 offset:10368
	global_wb scope:SCOPE_SE
	s_wait_dscnt 0x0
	s_barrier_signal -1
	s_barrier_wait -1
	global_inv scope:SCOPE_SE
	v_add_f64_e32 v[61:62], v[51:52], v[41:42]
	v_add_f64_e32 v[69:70], v[53:54], v[23:24]
	;; [unrolled: 1-line block ×7, first 2 shown]
	v_fma_f64 v[59:60], v[59:60], -0.5, v[13:14]
	v_add_f64_e64 v[43:44], v[43:44], -v[49:50]
	v_add_f64_e32 v[85:86], v[17:18], v[53:54]
	v_add_f64_e32 v[91:92], v[55:56], v[31:32]
	;; [unrolled: 1-line block ×3, first 2 shown]
	v_add_f64_e64 v[53:54], v[53:54], -v[23:24]
	v_add_f64_e32 v[93:94], v[57:58], v[35:36]
	v_add_f64_e64 v[51:52], v[51:52], -v[41:42]
	v_add_f64_e32 v[87:88], v[19:20], v[25:26]
	;; [unrolled: 2-line block ×3, first 2 shown]
	v_add_f64_e32 v[77:78], v[35:36], v[37:38]
	v_fma_f64 v[39:40], v[39:40], -0.5, v[11:12]
	v_add_f64_e64 v[99:100], v[25:26], -v[45:46]
	v_add_f64_e64 v[101:102], v[35:36], -v[37:38]
	v_dual_mov_b32 v2, 0 :: v_dual_lshlrev_b32 v1, 1, v64
	v_fma_f64 v[61:62], v[61:62], -0.5, v[15:16]
	v_fma_f64 v[69:70], v[69:70], -0.5, v[17:18]
	v_add_f64_e32 v[11:12], v[79:80], v[47:48]
	v_fma_f64 v[71:72], v[71:72], -0.5, v[19:20]
	v_fma_f64 v[73:74], v[73:74], -0.5, v[21:22]
	v_add_f64_e32 v[13:14], v[81:82], v[49:50]
	v_add_f64_e32 v[21:22], v[89:90], v[29:30]
	v_fma_f64 v[29:30], v[95:96], s[6:7], v[59:60]
	v_add_f64_e32 v[17:18], v[85:86], v[23:24]
	v_add_f64_e32 v[23:24], v[91:92], v[33:34]
	;; [unrolled: 1-line block ×5, first 2 shown]
	v_fma_f64 v[55:56], v[75:76], -0.5, v[55:56]
	v_add_f64_e64 v[75:76], v[31:32], -v[33:34]
	v_fma_f64 v[57:58], v[77:78], -0.5, v[57:58]
	v_fma_f64 v[27:28], v[43:44], s[2:3], v[39:40]
	v_fma_f64 v[31:32], v[43:44], s[6:7], v[39:40]
	v_fma_f64 v[33:34], v[95:96], s[2:3], v[59:60]
	v_lshlrev_b64_e32 v[59:60], 4, v[1:2]
	v_mul_u32_u24_e32 v1, 0x1b00, v3
	s_delay_alu instid0(VALU_DEP_2) | instskip(NEXT) | instid1(VALU_DEP_2)
	v_add_co_u32 v3, s0, s4, v59
	v_add3_u32 v1, 0, v1, v8
	v_fma_f64 v[35:36], v[53:54], s[2:3], v[61:62]
	v_fma_f64 v[37:38], v[51:52], s[6:7], v[69:70]
	;; [unrolled: 1-line block ×4, first 2 shown]
	v_mul_u32_u24_e32 v61, 0x1b00, v4
	v_fma_f64 v[43:44], v[97:98], s[2:3], v[71:72]
	v_fma_f64 v[45:46], v[99:100], s[6:7], v[73:74]
	;; [unrolled: 1-line block ×4, first 2 shown]
	v_mul_u32_u24_e32 v62, 0x1b00, v63
	v_lshlrev_b32_e32 v63, 4, v65
	v_lshlrev_b32_e32 v65, 4, v103
	s_wait_alu 0xf1ff
	v_add_co_ci_u32_e64 v4, s0, s5, v60, s0
	v_add3_u32 v8, 0, v61, v10
	v_add3_u32 v10, 0, v62, v63
	v_add3_u32 v9, 0, v9, v65
	v_fma_f64 v[51:52], v[101:102], s[2:3], v[55:56]
	v_fma_f64 v[55:56], v[101:102], s[6:7], v[55:56]
	;; [unrolled: 1-line block ×4, first 2 shown]
	ds_store_b128 v1, v[11:14]
	ds_store_b128 v1, v[27:30] offset:2304
	ds_store_b128 v1, v[31:34] offset:4608
	ds_store_b128 v8, v[15:18]
	ds_store_b128 v8, v[35:38] offset:2304
	ds_store_b128 v8, v[39:42] offset:4608
	;; [unrolled: 3-line block ×4, first 2 shown]
	global_wb scope:SCOPE_SE
	s_wait_dscnt 0x0
	s_barrier_signal -1
	s_barrier_wait -1
	global_inv scope:SCOPE_SE
	s_clause 0x1
	global_load_b128 v[8:11], v[3:4], off offset:6656
	global_load_b128 v[12:15], v[3:4], off offset:6672
	v_lshlrev_b32_e32 v1, 1, v7
	v_lshrrev_b16 v22, 4, v0
	s_delay_alu instid0(VALU_DEP_2) | instskip(SKIP_1) | instid1(VALU_DEP_3)
	v_lshlrev_b64_e32 v[16:17], 4, v[1:2]
	v_lshrrev_b16 v1, 4, v5
	v_and_b32_e32 v22, 0xffff, v22
	s_delay_alu instid0(VALU_DEP_3) | instskip(SKIP_1) | instid1(VALU_DEP_4)
	v_add_co_u32 v20, s0, s4, v16
	s_wait_alu 0xf1ff
	v_add_co_ci_u32_e64 v21, s0, s5, v17, s0
	v_and_b32_e32 v1, 0xffff, v1
	v_cmp_lt_u32_e64 s0, 0x6b, v64
	global_load_b128 v[16:19], v[20:21], off offset:6656
	v_mul_u32_u24_e32 v1, 0x12f7, v1
	s_delay_alu instid0(VALU_DEP_1) | instskip(SKIP_1) | instid1(VALU_DEP_2)
	v_lshrrev_b32_e32 v65, 17, v1
	v_mul_u32_u24_e32 v1, 0x12f7, v22
	v_mul_lo_u16 v22, 0x1b0, v65
	s_delay_alu instid0(VALU_DEP_2) | instskip(NEXT) | instid1(VALU_DEP_2)
	v_lshrrev_b32_e32 v1, 17, v1
	v_sub_nc_u16 v22, v5, v22
	s_delay_alu instid0(VALU_DEP_2) | instskip(NEXT) | instid1(VALU_DEP_2)
	v_mul_lo_u16 v1, 0x1b0, v1
	v_and_b32_e32 v99, 0xffff, v22
	s_delay_alu instid0(VALU_DEP_2) | instskip(NEXT) | instid1(VALU_DEP_2)
	v_sub_nc_u16 v1, v0, v1
	v_lshlrev_b32_e32 v28, 5, v99
	s_delay_alu instid0(VALU_DEP_2)
	v_and_b32_e32 v100, 0xffff, v1
	s_clause 0x1
	global_load_b128 v[20:23], v[20:21], off offset:6672
	global_load_b128 v[24:27], v28, s[4:5] offset:6656
	v_lshlrev_b32_e32 v1, 5, v100
	s_clause 0x2
	global_load_b128 v[28:31], v28, s[4:5] offset:6672
	global_load_b128 v[32:35], v1, s[4:5] offset:6656
	;; [unrolled: 1-line block ×3, first 2 shown]
	ds_load_b128 v[40:43], v68 offset:20736
	ds_load_b128 v[44:47], v68 offset:41472
	;; [unrolled: 1-line block ×8, first 2 shown]
	v_lshlrev_b32_e32 v1, 1, v6
	s_wait_loadcnt_dscnt 0x707
	v_mul_f64_e32 v[77:78], v[42:43], v[10:11]
	v_mul_f64_e32 v[10:11], v[40:41], v[10:11]
	s_wait_loadcnt_dscnt 0x606
	v_mul_f64_e32 v[79:80], v[46:47], v[14:15]
	v_mul_f64_e32 v[14:15], v[44:45], v[14:15]
	;; [unrolled: 3-line block ×3, first 2 shown]
	v_fma_f64 v[40:41], v[40:41], v[8:9], -v[77:78]
	v_fma_f64 v[42:43], v[42:43], v[8:9], v[10:11]
	ds_load_b128 v[8:11], v68 offset:57024
	v_fma_f64 v[44:45], v[44:45], v[12:13], -v[79:80]
	v_fma_f64 v[46:47], v[46:47], v[12:13], v[14:15]
	s_wait_loadcnt_dscnt 0x402
	v_mul_f64_e32 v[77:78], v[71:72], v[22:23]
	v_mul_f64_e32 v[22:23], v[69:70], v[22:23]
	s_wait_loadcnt 0x3
	v_mul_f64_e32 v[83:84], v[62:63], v[26:27]
	v_mul_f64_e32 v[12:13], v[60:61], v[26:27]
	s_wait_loadcnt_dscnt 0x201
	v_mul_f64_e32 v[14:15], v[75:76], v[30:31]
	v_mul_f64_e32 v[26:27], v[73:74], v[30:31]
	s_wait_loadcnt 0x1
	v_mul_f64_e32 v[30:31], v[58:59], v[34:35]
	v_fma_f64 v[48:49], v[48:49], v[16:17], -v[81:82]
	v_fma_f64 v[50:51], v[50:51], v[16:17], v[18:19]
	s_wait_loadcnt_dscnt 0x0
	v_mul_f64_e32 v[16:17], v[10:11], v[38:39]
	v_mul_f64_e32 v[18:19], v[56:57], v[34:35]
	;; [unrolled: 1-line block ×3, first 2 shown]
	v_fma_f64 v[38:39], v[69:70], v[20:21], -v[77:78]
	v_fma_f64 v[20:21], v[71:72], v[20:21], v[22:23]
	v_fma_f64 v[22:23], v[60:61], v[24:25], -v[83:84]
	v_fma_f64 v[24:25], v[62:63], v[24:25], v[12:13]
	;; [unrolled: 2-line block ×3, first 2 shown]
	v_fma_f64 v[28:29], v[56:57], v[32:33], -v[30:31]
	v_add_f64_e32 v[56:57], v[42:43], v[46:47]
	v_fma_f64 v[30:31], v[8:9], v[36:37], -v[16:17]
	v_fma_f64 v[32:33], v[58:59], v[32:33], v[18:19]
	v_fma_f64 v[34:35], v[10:11], v[36:37], v[34:35]
	v_add_f64_e32 v[36:37], v[40:41], v[44:45]
	ds_load_b128 v[8:11], v68
	ds_load_b128 v[12:15], v68 offset:5184
	ds_load_b128 v[16:19], v68 offset:10368
	global_wb scope:SCOPE_SE
	s_wait_dscnt 0x0
	s_barrier_signal -1
	s_barrier_wait -1
	global_inv scope:SCOPE_SE
	v_add_f64_e32 v[77:78], v[8:9], v[40:41]
	v_add_f64_e32 v[79:80], v[10:11], v[42:43]
	v_add_f64_e64 v[42:43], v[42:43], -v[46:47]
	v_add_f64_e64 v[40:41], v[40:41], -v[44:45]
	v_add_f64_e32 v[58:59], v[48:49], v[38:39]
	v_add_f64_e32 v[62:63], v[50:51], v[20:21]
	;; [unrolled: 1-line block ×8, first 2 shown]
	v_fma_f64 v[56:57], v[56:57], -0.5, v[10:11]
	v_add_f64_e64 v[50:51], v[50:51], -v[20:21]
	v_add_f64_e32 v[73:74], v[28:29], v[30:31]
	v_add_f64_e32 v[91:92], v[54:55], v[32:33]
	;; [unrolled: 1-line block ×3, first 2 shown]
	v_fma_f64 v[36:37], v[36:37], -0.5, v[8:9]
	v_add_f64_e64 v[48:49], v[48:49], -v[38:39]
	v_add_f64_e32 v[85:86], v[16:17], v[22:23]
	v_add_f64_e64 v[93:94], v[24:25], -v[26:27]
	v_add_f64_e64 v[95:96], v[22:23], -v[60:61]
	;; [unrolled: 1-line block ×3, first 2 shown]
	v_add_f64_e32 v[8:9], v[77:78], v[44:45]
	v_add_f64_e32 v[10:11], v[79:80], v[46:47]
	v_fma_f64 v[58:59], v[58:59], -0.5, v[12:13]
	v_fma_f64 v[62:63], v[62:63], -0.5, v[14:15]
	v_add_f64_e32 v[14:15], v[83:84], v[20:21]
	v_add_f64_e32 v[12:13], v[81:82], v[38:39]
	v_fma_f64 v[69:70], v[69:70], -0.5, v[16:17]
	v_fma_f64 v[71:72], v[71:72], -0.5, v[18:19]
	v_add_f64_e32 v[18:19], v[87:88], v[26:27]
	v_fma_f64 v[26:27], v[40:41], s[6:7], v[56:57]
	v_add_f64_e32 v[20:21], v[89:90], v[30:31]
	v_fma_f64 v[52:53], v[73:74], -0.5, v[52:53]
	v_add_f64_e64 v[73:74], v[28:29], -v[30:31]
	v_fma_f64 v[54:55], v[75:76], -0.5, v[54:55]
	v_fma_f64 v[24:25], v[42:43], s[2:3], v[36:37]
	v_fma_f64 v[28:29], v[42:43], s[6:7], v[36:37]
	;; [unrolled: 1-line block ×3, first 2 shown]
	v_add_f64_e32 v[22:23], v[91:92], v[34:35]
	v_add_f64_e32 v[16:17], v[85:86], v[60:61]
	v_lshlrev_b32_e32 v57, 4, v7
	v_lshlrev_b64_e32 v[6:7], 4, v[1:2]
	s_wait_alu 0xf1ff
	v_cndmask_b32_e64 v56, 0, 0x5100, s0
	s_delay_alu instid0(VALU_DEP_1) | instskip(NEXT) | instid1(VALU_DEP_3)
	v_add3_u32 v1, 0, v56, v57
	v_add_co_u32 v56, s0, s4, v6
	s_wait_alu 0xf1ff
	v_add_co_ci_u32_e64 v57, s0, s5, v7, s0
	v_lshl_add_u32 v6, v100, 4, 0
	v_fma_f64 v[32:33], v[50:51], s[2:3], v[58:59]
	v_fma_f64 v[34:35], v[48:49], s[6:7], v[62:63]
	;; [unrolled: 1-line block ×4, first 2 shown]
	v_mul_u32_u24_e32 v58, 0x5100, v65
	v_fma_f64 v[40:41], v[93:94], s[2:3], v[69:70]
	v_fma_f64 v[42:43], v[95:96], s[6:7], v[71:72]
	;; [unrolled: 1-line block ×4, first 2 shown]
	v_lshlrev_b32_e32 v59, 4, v99
	v_fma_f64 v[48:49], v[97:98], s[2:3], v[52:53]
	v_fma_f64 v[52:53], v[97:98], s[6:7], v[52:53]
	;; [unrolled: 1-line block ×4, first 2 shown]
	v_add3_u32 v7, 0, v58, v59
	ds_store_b128 v68, v[8:11]
	ds_store_b128 v68, v[24:27] offset:6912
	ds_store_b128 v68, v[28:31] offset:13824
	ds_store_b128 v1, v[12:15]
	ds_store_b128 v1, v[32:35] offset:6912
	ds_store_b128 v1, v[36:39] offset:13824
	ds_store_b128 v7, v[16:19]
	ds_store_b128 v7, v[40:43] offset:6912
	ds_store_b128 v7, v[44:47] offset:13824
	ds_store_b128 v6, v[20:23] offset:41472
	ds_store_b128 v6, v[48:51] offset:48384
	;; [unrolled: 1-line block ×3, first 2 shown]
	global_wb scope:SCOPE_SE
	s_wait_dscnt 0x0
	s_barrier_signal -1
	s_barrier_wait -1
	global_inv scope:SCOPE_SE
	s_clause 0x1
	global_load_b128 v[6:9], v[56:57], off offset:20480
	global_load_b128 v[10:13], v[56:57], off offset:20496
	v_lshlrev_b32_e32 v1, 1, v5
	s_delay_alu instid0(VALU_DEP_1) | instskip(SKIP_1) | instid1(VALU_DEP_1)
	v_lshlrev_b64_e32 v[14:15], 4, v[1:2]
	v_lshlrev_b32_e32 v1, 1, v0
	v_lshlrev_b64_e32 v[0:1], 4, v[1:2]
	s_delay_alu instid0(VALU_DEP_3) | instskip(SKIP_1) | instid1(VALU_DEP_4)
	v_add_co_u32 v26, s0, s4, v14
	s_wait_alu 0xf1ff
	v_add_co_ci_u32_e64 v27, s0, s5, v15, s0
	s_clause 0x2
	global_load_b128 v[14:17], v[3:4], off offset:20496
	global_load_b128 v[18:21], v[3:4], off offset:20480
	;; [unrolled: 1-line block ×3, first 2 shown]
	v_add_co_u32 v0, s0, s4, v0
	s_wait_alu 0xf1ff
	v_add_co_ci_u32_e64 v1, s0, s5, v1, s0
	s_clause 0x2
	global_load_b128 v[26:29], v[26:27], off offset:20496
	global_load_b128 v[30:33], v[0:1], off offset:20480
	global_load_b128 v[34:37], v[0:1], off offset:20496
	ds_load_b128 v[38:41], v68 offset:25920
	ds_load_b128 v[42:45], v68 offset:46656
	;; [unrolled: 1-line block ×9, first 2 shown]
	s_wait_loadcnt_dscnt 0x708
	v_mul_f64_e32 v[0:1], v[40:41], v[8:9]
	v_mul_f64_e32 v[3:4], v[38:39], v[8:9]
	s_wait_loadcnt_dscnt 0x607
	v_mul_f64_e32 v[8:9], v[44:45], v[12:13]
	v_mul_f64_e32 v[12:13], v[42:43], v[12:13]
	s_wait_loadcnt_dscnt 0x503
	v_mul_f64_e32 v[81:82], v[60:61], v[16:17]
	s_wait_loadcnt 0x4
	v_mul_f64_e32 v[62:63], v[56:57], v[20:21]
	s_wait_loadcnt 0x3
	v_mul_f64_e32 v[83:84], v[48:49], v[24:25]
	v_mul_f64_e32 v[20:21], v[54:55], v[20:21]
	;; [unrolled: 1-line block ×3, first 2 shown]
	v_fma_f64 v[0:1], v[38:39], v[6:7], -v[0:1]
	v_fma_f64 v[38:39], v[40:41], v[6:7], v[3:4]
	v_mul_f64_e32 v[3:4], v[46:47], v[24:25]
	s_wait_loadcnt 0x2
	v_mul_f64_e32 v[5:6], v[52:53], v[28:29]
	v_mul_f64_e32 v[24:25], v[50:51], v[28:29]
	s_wait_loadcnt_dscnt 0x102
	v_mul_f64_e32 v[28:29], v[71:72], v[32:33]
	v_fma_f64 v[40:41], v[42:43], v[10:11], -v[8:9]
	v_fma_f64 v[42:43], v[44:45], v[10:11], v[12:13]
	v_mul_f64_e32 v[7:8], v[69:70], v[32:33]
	s_wait_loadcnt_dscnt 0x1
	v_mul_f64_e32 v[9:10], v[75:76], v[36:37]
	v_mul_f64_e32 v[11:12], v[73:74], v[36:37]
	v_fma_f64 v[36:37], v[58:59], v[14:15], -v[81:82]
	v_fma_f64 v[32:33], v[54:55], v[18:19], -v[62:63]
	;; [unrolled: 1-line block ×3, first 2 shown]
	v_fma_f64 v[18:19], v[56:57], v[18:19], v[20:21]
	v_fma_f64 v[15:16], v[60:61], v[14:15], v[16:17]
	;; [unrolled: 1-line block ×3, first 2 shown]
	v_fma_f64 v[46:47], v[50:51], v[26:27], -v[5:6]
	v_fma_f64 v[24:25], v[52:53], v[26:27], v[24:25]
	v_fma_f64 v[20:21], v[69:70], v[30:31], -v[28:29]
	v_add_f64_e32 v[48:49], v[0:1], v[40:41]
	v_add_f64_e32 v[50:51], v[38:39], v[42:43]
	v_fma_f64 v[26:27], v[71:72], v[30:31], v[7:8]
	v_fma_f64 v[28:29], v[73:74], v[34:35], -v[9:10]
	v_fma_f64 v[30:31], v[75:76], v[34:35], v[11:12]
	ds_load_b128 v[3:6], v68
	ds_load_b128 v[7:10], v68 offset:5184
	ds_load_b128 v[11:14], v68 offset:10368
	v_add_f64_e64 v[73:74], v[38:39], -v[42:43]
	global_wb scope:SCOPE_SE
	s_wait_dscnt 0x0
	s_barrier_signal -1
	s_barrier_wait -1
	v_add_f64_e32 v[34:35], v[32:33], v[36:37]
	v_add_f64_e64 v[89:90], v[32:33], -v[36:37]
	global_inv scope:SCOPE_SE
	v_add_f64_e32 v[56:57], v[18:19], v[15:16]
	v_add_f64_e64 v[69:70], v[18:19], -v[15:16]
	v_add_f64_e32 v[17:18], v[5:6], v[18:19]
	v_add_f64_e32 v[71:72], v[7:8], v[0:1]
	;; [unrolled: 1-line block ×4, first 2 shown]
	v_add_f64_e64 v[0:1], v[0:1], -v[40:41]
	v_add_f64_e32 v[62:63], v[3:4], v[32:33]
	v_add_f64_e32 v[81:82], v[13:14], v[22:23]
	;; [unrolled: 1-line block ×5, first 2 shown]
	v_fma_f64 v[48:49], v[48:49], -0.5, v[7:8]
	v_fma_f64 v[50:51], v[50:51], -0.5, v[9:10]
	v_add_f64_e32 v[85:86], v[79:80], v[26:27]
	v_add_f64_e32 v[58:59], v[20:21], v[28:29]
	;; [unrolled: 1-line block ×3, first 2 shown]
	v_add_f64_e64 v[87:88], v[22:23], -v[24:25]
	v_add_f64_e64 v[44:45], v[44:45], -v[46:47]
	v_add_f64_e64 v[91:92], v[26:27], -v[30:31]
	v_add_f64_e64 v[93:94], v[20:21], -v[28:29]
	v_fma_f64 v[34:35], v[34:35], -0.5, v[3:4]
	v_fma_f64 v[56:57], v[56:57], -0.5, v[5:6]
	v_add_f64_e32 v[5:6], v[17:18], v[15:16]
	v_add_f64_e32 v[7:8], v[71:72], v[40:41]
	;; [unrolled: 1-line block ×4, first 2 shown]
	v_fma_f64 v[52:53], v[52:53], -0.5, v[11:12]
	v_fma_f64 v[54:55], v[54:55], -0.5, v[13:14]
	v_add_f64_e32 v[11:12], v[75:76], v[46:47]
	v_add_f64_e32 v[13:14], v[81:82], v[24:25]
	;; [unrolled: 1-line block ×4, first 2 shown]
	v_fma_f64 v[58:59], v[58:59], -0.5, v[77:78]
	v_fma_f64 v[60:61], v[60:61], -0.5, v[79:80]
	v_fma_f64 v[27:28], v[73:74], s[2:3], v[48:49]
	v_fma_f64 v[29:30], v[0:1], s[6:7], v[50:51]
	;; [unrolled: 1-line block ×8, first 2 shown]
	v_lshlrev_b32_e32 v0, 4, v64
	v_fma_f64 v[35:36], v[87:88], s[2:3], v[52:53]
	v_fma_f64 v[37:38], v[44:45], s[6:7], v[54:55]
	;; [unrolled: 1-line block ×8, first 2 shown]
	ds_store_b128 v68, v[7:10] offset:5184
	ds_store_b128 v68, v[11:14] offset:10368
	;; [unrolled: 1-line block ×10, first 2 shown]
	ds_store_b128 v68, v[3:6]
	ds_store_b128 v68, v[47:50] offset:57024
	global_wb scope:SCOPE_SE
	s_wait_dscnt 0x0
	s_barrier_signal -1
	s_barrier_wait -1
	global_inv scope:SCOPE_SE
	ds_load_b128 v[4:7], v68
	v_sub_nc_u32_e32 v14, 0, v0
                                        ; implicit-def: $vgpr0_vgpr1
                                        ; implicit-def: $vgpr8_vgpr9
                                        ; implicit-def: $vgpr10_vgpr11
                                        ; implicit-def: $vgpr12_vgpr13
	v_cmpx_ne_u32_e32 0, v64
	s_xor_b32 s1, exec_lo, s1
	s_cbranch_execz .LBB0_15
; %bb.14:
	v_mov_b32_e32 v65, v2
	s_delay_alu instid0(VALU_DEP_1) | instskip(NEXT) | instid1(VALU_DEP_1)
	v_lshlrev_b64_e32 v[0:1], 4, v[64:65]
	v_add_co_u32 v0, s0, s4, v0
	s_wait_alu 0xf1ff
	s_delay_alu instid0(VALU_DEP_2)
	v_add_co_ci_u32_e64 v1, s0, s5, v1, s0
	global_load_b128 v[15:18], v[0:1], off offset:61952
	ds_load_b128 v[0:3], v14 offset:62208
	s_wait_dscnt 0x0
	v_add_f64_e64 v[8:9], v[4:5], -v[0:1]
	v_add_f64_e32 v[10:11], v[6:7], v[2:3]
	v_add_f64_e64 v[2:3], v[6:7], -v[2:3]
	v_add_f64_e32 v[0:1], v[4:5], v[0:1]
	s_delay_alu instid0(VALU_DEP_4) | instskip(NEXT) | instid1(VALU_DEP_4)
	v_mul_f64_e32 v[6:7], 0.5, v[8:9]
	v_mul_f64_e32 v[4:5], 0.5, v[10:11]
	s_delay_alu instid0(VALU_DEP_4) | instskip(SKIP_1) | instid1(VALU_DEP_3)
	v_mul_f64_e32 v[2:3], 0.5, v[2:3]
	s_wait_loadcnt 0x0
	v_mul_f64_e32 v[8:9], v[6:7], v[17:18]
	s_delay_alu instid0(VALU_DEP_2) | instskip(SKIP_1) | instid1(VALU_DEP_3)
	v_fma_f64 v[10:11], v[4:5], v[17:18], v[2:3]
	v_fma_f64 v[2:3], v[4:5], v[17:18], -v[2:3]
	v_fma_f64 v[12:13], v[0:1], 0.5, v[8:9]
	v_fma_f64 v[0:1], v[0:1], 0.5, -v[8:9]
	s_delay_alu instid0(VALU_DEP_4) | instskip(NEXT) | instid1(VALU_DEP_4)
	v_fma_f64 v[10:11], -v[15:16], v[6:7], v[10:11]
	v_fma_f64 v[2:3], -v[15:16], v[6:7], v[2:3]
	s_delay_alu instid0(VALU_DEP_4) | instskip(NEXT) | instid1(VALU_DEP_4)
	v_fma_f64 v[8:9], v[4:5], v[15:16], v[12:13]
	v_fma_f64 v[0:1], -v[4:5], v[15:16], v[0:1]
	v_dual_mov_b32 v12, v64 :: v_dual_mov_b32 v13, v65
                                        ; implicit-def: $vgpr4_vgpr5
.LBB0_15:
	s_wait_alu 0xfffe
	s_and_not1_saveexec_b32 s0, s1
	s_cbranch_execz .LBB0_17
; %bb.16:
	s_wait_dscnt 0x0
	v_add_f64_e32 v[8:9], v[4:5], v[6:7]
	v_add_f64_e64 v[0:1], v[4:5], -v[6:7]
	v_mov_b32_e32 v6, 0
	v_mov_b32_e32 v10, 0
	v_dual_mov_b32 v11, 0 :: v_dual_mov_b32 v12, 0
	s_delay_alu instid0(VALU_DEP_2)
	v_mov_b32_e32 v2, v10
	ds_load_b64 v[4:5], v6 offset:31112
	v_mov_b32_e32 v13, 0
	v_mov_b32_e32 v3, v11
	s_wait_dscnt 0x0
	v_xor_b32_e32 v5, 0x80000000, v5
	ds_store_b64 v6, v[4:5] offset:31112
.LBB0_17:
	s_wait_alu 0xfffe
	s_or_b32 exec_lo, exec_lo, s0
	s_wait_dscnt 0x0
	v_lshlrev_b64_e32 v[4:5], 4, v[12:13]
	s_add_nc_u64 s[0:1], s[4:5], 0xf200
	s_wait_alu 0xfffe
	s_delay_alu instid0(VALU_DEP_1) | instskip(SKIP_1) | instid1(VALU_DEP_2)
	v_add_co_u32 v23, s0, s0, v4
	s_wait_alu 0xf1ff
	v_add_co_ci_u32_e64 v24, s0, s1, v5, s0
	s_clause 0x1
	global_load_b128 v[15:18], v[23:24], off offset:5184
	global_load_b128 v[19:22], v[23:24], off offset:10368
	ds_store_2addr_b64 v68, v[8:9], v[10:11] offset1:1
	ds_store_b128 v14, v[0:3] offset:62208
	ds_load_b128 v[0:3], v68 offset:5184
	ds_load_b128 v[6:9], v14 offset:57024
	s_wait_dscnt 0x0
	v_add_f64_e64 v[10:11], v[0:1], -v[6:7]
	v_add_f64_e32 v[12:13], v[2:3], v[8:9]
	v_add_f64_e64 v[2:3], v[2:3], -v[8:9]
	v_add_f64_e32 v[0:1], v[0:1], v[6:7]
	s_delay_alu instid0(VALU_DEP_4) | instskip(NEXT) | instid1(VALU_DEP_4)
	v_mul_f64_e32 v[8:9], 0.5, v[10:11]
	v_mul_f64_e32 v[10:11], 0.5, v[12:13]
	s_delay_alu instid0(VALU_DEP_4) | instskip(SKIP_1) | instid1(VALU_DEP_3)
	v_mul_f64_e32 v[2:3], 0.5, v[2:3]
	s_wait_loadcnt 0x1
	v_mul_f64_e32 v[6:7], v[8:9], v[17:18]
	s_delay_alu instid0(VALU_DEP_2) | instskip(SKIP_1) | instid1(VALU_DEP_3)
	v_fma_f64 v[12:13], v[10:11], v[17:18], v[2:3]
	v_fma_f64 v[2:3], v[10:11], v[17:18], -v[2:3]
	v_fma_f64 v[17:18], v[0:1], 0.5, v[6:7]
	v_fma_f64 v[0:1], v[0:1], 0.5, -v[6:7]
	s_delay_alu instid0(VALU_DEP_4) | instskip(NEXT) | instid1(VALU_DEP_4)
	v_fma_f64 v[12:13], -v[15:16], v[8:9], v[12:13]
	v_fma_f64 v[2:3], -v[15:16], v[8:9], v[2:3]
	global_load_b128 v[6:9], v[23:24], off offset:15552
	v_fma_f64 v[17:18], v[10:11], v[15:16], v[17:18]
	v_fma_f64 v[0:1], -v[10:11], v[15:16], v[0:1]
	v_add_nc_u32_e32 v10, 0x1000, v68
	ds_store_2addr_b64 v10, v[17:18], v[12:13] offset0:136 offset1:137
	ds_store_b128 v14, v[0:3] offset:57024
	ds_load_b128 v[0:3], v68 offset:10368
	ds_load_b128 v[10:13], v14 offset:51840
	s_wait_dscnt 0x0
	v_add_f64_e64 v[15:16], v[0:1], -v[10:11]
	v_add_f64_e32 v[17:18], v[2:3], v[12:13]
	v_add_f64_e64 v[2:3], v[2:3], -v[12:13]
	v_add_f64_e32 v[0:1], v[0:1], v[10:11]
	s_delay_alu instid0(VALU_DEP_4) | instskip(NEXT) | instid1(VALU_DEP_4)
	v_mul_f64_e32 v[12:13], 0.5, v[15:16]
	v_mul_f64_e32 v[15:16], 0.5, v[17:18]
	s_delay_alu instid0(VALU_DEP_4) | instskip(SKIP_1) | instid1(VALU_DEP_3)
	v_mul_f64_e32 v[2:3], 0.5, v[2:3]
	s_wait_loadcnt 0x1
	v_mul_f64_e32 v[10:11], v[12:13], v[21:22]
	s_delay_alu instid0(VALU_DEP_2) | instskip(SKIP_1) | instid1(VALU_DEP_3)
	v_fma_f64 v[17:18], v[15:16], v[21:22], v[2:3]
	v_fma_f64 v[2:3], v[15:16], v[21:22], -v[2:3]
	v_fma_f64 v[21:22], v[0:1], 0.5, v[10:11]
	v_fma_f64 v[0:1], v[0:1], 0.5, -v[10:11]
	s_delay_alu instid0(VALU_DEP_4) | instskip(NEXT) | instid1(VALU_DEP_4)
	v_fma_f64 v[17:18], -v[19:20], v[12:13], v[17:18]
	v_fma_f64 v[2:3], -v[19:20], v[12:13], v[2:3]
	global_load_b128 v[10:13], v[23:24], off offset:20736
	v_fma_f64 v[21:22], v[15:16], v[19:20], v[21:22]
	v_fma_f64 v[0:1], -v[15:16], v[19:20], v[0:1]
	v_add_nc_u32_e32 v15, 0x2800, v68
	ds_store_2addr_b64 v15, v[21:22], v[17:18] offset0:16 offset1:17
	ds_store_b128 v14, v[0:3] offset:51840
	ds_load_b128 v[0:3], v68 offset:15552
	ds_load_b128 v[15:18], v14 offset:46656
	s_wait_dscnt 0x0
	v_add_f64_e64 v[19:20], v[0:1], -v[15:16]
	v_add_f64_e32 v[21:22], v[2:3], v[17:18]
	v_add_f64_e64 v[2:3], v[2:3], -v[17:18]
	v_add_f64_e32 v[0:1], v[0:1], v[15:16]
	s_delay_alu instid0(VALU_DEP_4) | instskip(NEXT) | instid1(VALU_DEP_4)
	v_mul_f64_e32 v[17:18], 0.5, v[19:20]
	v_mul_f64_e32 v[19:20], 0.5, v[21:22]
	s_delay_alu instid0(VALU_DEP_4) | instskip(SKIP_1) | instid1(VALU_DEP_3)
	v_mul_f64_e32 v[2:3], 0.5, v[2:3]
	s_wait_loadcnt 0x1
	v_mul_f64_e32 v[15:16], v[17:18], v[8:9]
	s_delay_alu instid0(VALU_DEP_2) | instskip(SKIP_1) | instid1(VALU_DEP_3)
	v_fma_f64 v[21:22], v[19:20], v[8:9], v[2:3]
	v_fma_f64 v[2:3], v[19:20], v[8:9], -v[2:3]
	v_fma_f64 v[8:9], v[0:1], 0.5, v[15:16]
	v_fma_f64 v[0:1], v[0:1], 0.5, -v[15:16]
	s_delay_alu instid0(VALU_DEP_4) | instskip(NEXT) | instid1(VALU_DEP_4)
	v_fma_f64 v[15:16], -v[6:7], v[17:18], v[21:22]
	v_fma_f64 v[2:3], -v[6:7], v[17:18], v[2:3]
	s_delay_alu instid0(VALU_DEP_4) | instskip(NEXT) | instid1(VALU_DEP_4)
	v_fma_f64 v[17:18], v[19:20], v[6:7], v[8:9]
	v_fma_f64 v[0:1], -v[19:20], v[6:7], v[0:1]
	global_load_b128 v[6:9], v[23:24], off offset:25920
	v_add_nc_u32_e32 v19, 0x3800, v68
	ds_store_2addr_b64 v19, v[17:18], v[15:16] offset0:152 offset1:153
	ds_store_b128 v14, v[0:3] offset:46656
	ds_load_b128 v[0:3], v68 offset:20736
	ds_load_b128 v[15:18], v14 offset:41472
	s_wait_dscnt 0x0
	v_add_f64_e64 v[19:20], v[0:1], -v[15:16]
	v_add_f64_e32 v[21:22], v[2:3], v[17:18]
	v_add_f64_e64 v[2:3], v[2:3], -v[17:18]
	v_add_f64_e32 v[0:1], v[0:1], v[15:16]
	s_delay_alu instid0(VALU_DEP_4) | instskip(NEXT) | instid1(VALU_DEP_4)
	v_mul_f64_e32 v[17:18], 0.5, v[19:20]
	v_mul_f64_e32 v[19:20], 0.5, v[21:22]
	s_delay_alu instid0(VALU_DEP_4) | instskip(SKIP_1) | instid1(VALU_DEP_3)
	v_mul_f64_e32 v[2:3], 0.5, v[2:3]
	s_wait_loadcnt 0x1
	v_mul_f64_e32 v[15:16], v[17:18], v[12:13]
	s_delay_alu instid0(VALU_DEP_2) | instskip(SKIP_1) | instid1(VALU_DEP_3)
	v_fma_f64 v[21:22], v[19:20], v[12:13], v[2:3]
	v_fma_f64 v[2:3], v[19:20], v[12:13], -v[2:3]
	v_fma_f64 v[12:13], v[0:1], 0.5, v[15:16]
	v_fma_f64 v[0:1], v[0:1], 0.5, -v[15:16]
	s_delay_alu instid0(VALU_DEP_4) | instskip(NEXT) | instid1(VALU_DEP_4)
	v_fma_f64 v[15:16], -v[10:11], v[17:18], v[21:22]
	v_fma_f64 v[2:3], -v[10:11], v[17:18], v[2:3]
	s_delay_alu instid0(VALU_DEP_4) | instskip(NEXT) | instid1(VALU_DEP_4)
	v_fma_f64 v[12:13], v[19:20], v[10:11], v[12:13]
	v_fma_f64 v[0:1], -v[19:20], v[10:11], v[0:1]
	v_add_nc_u32_e32 v10, 0x5000, v68
	ds_store_2addr_b64 v10, v[12:13], v[15:16] offset0:32 offset1:33
	ds_store_b128 v14, v[0:3] offset:41472
	ds_load_b128 v[0:3], v68 offset:25920
	ds_load_b128 v[10:13], v14 offset:36288
	s_wait_dscnt 0x0
	v_add_f64_e64 v[15:16], v[0:1], -v[10:11]
	v_add_f64_e32 v[17:18], v[2:3], v[12:13]
	v_add_f64_e64 v[2:3], v[2:3], -v[12:13]
	v_add_f64_e32 v[0:1], v[0:1], v[10:11]
	s_delay_alu instid0(VALU_DEP_4) | instskip(NEXT) | instid1(VALU_DEP_4)
	v_mul_f64_e32 v[12:13], 0.5, v[15:16]
	v_mul_f64_e32 v[15:16], 0.5, v[17:18]
	s_delay_alu instid0(VALU_DEP_4) | instskip(SKIP_1) | instid1(VALU_DEP_3)
	v_mul_f64_e32 v[2:3], 0.5, v[2:3]
	s_wait_loadcnt 0x0
	v_mul_f64_e32 v[10:11], v[12:13], v[8:9]
	s_delay_alu instid0(VALU_DEP_2) | instskip(SKIP_1) | instid1(VALU_DEP_3)
	v_fma_f64 v[17:18], v[15:16], v[8:9], v[2:3]
	v_fma_f64 v[2:3], v[15:16], v[8:9], -v[2:3]
	v_fma_f64 v[8:9], v[0:1], 0.5, v[10:11]
	v_fma_f64 v[0:1], v[0:1], 0.5, -v[10:11]
	s_delay_alu instid0(VALU_DEP_4) | instskip(NEXT) | instid1(VALU_DEP_4)
	v_fma_f64 v[10:11], -v[6:7], v[12:13], v[17:18]
	v_fma_f64 v[2:3], -v[6:7], v[12:13], v[2:3]
	s_delay_alu instid0(VALU_DEP_4) | instskip(NEXT) | instid1(VALU_DEP_4)
	v_fma_f64 v[8:9], v[15:16], v[6:7], v[8:9]
	v_fma_f64 v[0:1], -v[15:16], v[6:7], v[0:1]
	v_add_nc_u32_e32 v6, 0x6000, v68
	ds_store_2addr_b64 v6, v[8:9], v[10:11] offset0:168 offset1:169
	ds_store_b128 v14, v[0:3] offset:36288
	global_wb scope:SCOPE_SE
	s_wait_dscnt 0x0
	s_barrier_signal -1
	s_barrier_wait -1
	global_inv scope:SCOPE_SE
	s_and_saveexec_b32 s0, vcc_lo
	s_cbranch_execz .LBB0_20
; %bb.18:
	ds_load_b128 v[6:9], v68
	ds_load_b128 v[10:13], v68 offset:5184
	ds_load_b128 v[14:17], v68 offset:10368
	;; [unrolled: 1-line block ×11, first 2 shown]
	v_add_co_u32 v0, vcc_lo, s8, v66
	s_wait_alu 0xfffd
	v_add_co_ci_u32_e32 v1, vcc_lo, s9, v67, vcc_lo
	s_delay_alu instid0(VALU_DEP_2) | instskip(SKIP_1) | instid1(VALU_DEP_2)
	v_add_co_u32 v2, vcc_lo, v0, v4
	s_wait_alu 0xfffd
	v_add_co_ci_u32_e32 v3, vcc_lo, v1, v5, vcc_lo
	v_cmp_eq_u32_e32 vcc_lo, 0x143, v64
	s_wait_dscnt 0xb
	global_store_b128 v[2:3], v[6:9], off
	s_wait_dscnt 0xa
	global_store_b128 v[2:3], v[10:13], off offset:5184
	s_wait_dscnt 0x9
	global_store_b128 v[2:3], v[14:17], off offset:10368
	;; [unrolled: 2-line block ×11, first 2 shown]
	s_and_b32 exec_lo, exec_lo, vcc_lo
	s_cbranch_execz .LBB0_20
; %bb.19:
	v_mov_b32_e32 v2, 0
	ds_load_b128 v[2:5], v2 offset:62208
	s_wait_dscnt 0x0
	global_store_b128 v[0:1], v[2:5], off offset:62208
.LBB0_20:
	s_nop 0
	s_sendmsg sendmsg(MSG_DEALLOC_VGPRS)
	s_endpgm
	.section	.rodata,"a",@progbits
	.p2align	6, 0x0
	.amdhsa_kernel fft_rtc_fwd_len3888_factors_16_3_3_3_3_3_wgs_324_tpt_324_halfLds_dp_ip_CI_unitstride_sbrr_R2C_dirReg
		.amdhsa_group_segment_fixed_size 0
		.amdhsa_private_segment_fixed_size 0
		.amdhsa_kernarg_size 88
		.amdhsa_user_sgpr_count 2
		.amdhsa_user_sgpr_dispatch_ptr 0
		.amdhsa_user_sgpr_queue_ptr 0
		.amdhsa_user_sgpr_kernarg_segment_ptr 1
		.amdhsa_user_sgpr_dispatch_id 0
		.amdhsa_user_sgpr_private_segment_size 0
		.amdhsa_wavefront_size32 1
		.amdhsa_uses_dynamic_stack 0
		.amdhsa_enable_private_segment 0
		.amdhsa_system_sgpr_workgroup_id_x 1
		.amdhsa_system_sgpr_workgroup_id_y 0
		.amdhsa_system_sgpr_workgroup_id_z 0
		.amdhsa_system_sgpr_workgroup_info 0
		.amdhsa_system_vgpr_workitem_id 0
		.amdhsa_next_free_vgpr 108
		.amdhsa_next_free_sgpr 32
		.amdhsa_reserve_vcc 1
		.amdhsa_float_round_mode_32 0
		.amdhsa_float_round_mode_16_64 0
		.amdhsa_float_denorm_mode_32 3
		.amdhsa_float_denorm_mode_16_64 3
		.amdhsa_fp16_overflow 0
		.amdhsa_workgroup_processor_mode 1
		.amdhsa_memory_ordered 1
		.amdhsa_forward_progress 0
		.amdhsa_round_robin_scheduling 0
		.amdhsa_exception_fp_ieee_invalid_op 0
		.amdhsa_exception_fp_denorm_src 0
		.amdhsa_exception_fp_ieee_div_zero 0
		.amdhsa_exception_fp_ieee_overflow 0
		.amdhsa_exception_fp_ieee_underflow 0
		.amdhsa_exception_fp_ieee_inexact 0
		.amdhsa_exception_int_div_zero 0
	.end_amdhsa_kernel
	.text
.Lfunc_end0:
	.size	fft_rtc_fwd_len3888_factors_16_3_3_3_3_3_wgs_324_tpt_324_halfLds_dp_ip_CI_unitstride_sbrr_R2C_dirReg, .Lfunc_end0-fft_rtc_fwd_len3888_factors_16_3_3_3_3_3_wgs_324_tpt_324_halfLds_dp_ip_CI_unitstride_sbrr_R2C_dirReg
                                        ; -- End function
	.section	.AMDGPU.csdata,"",@progbits
; Kernel info:
; codeLenInByte = 10924
; NumSgprs: 34
; NumVgprs: 108
; ScratchSize: 0
; MemoryBound: 0
; FloatMode: 240
; IeeeMode: 1
; LDSByteSize: 0 bytes/workgroup (compile time only)
; SGPRBlocks: 4
; VGPRBlocks: 13
; NumSGPRsForWavesPerEU: 34
; NumVGPRsForWavesPerEU: 108
; Occupancy: 12
; WaveLimiterHint : 1
; COMPUTE_PGM_RSRC2:SCRATCH_EN: 0
; COMPUTE_PGM_RSRC2:USER_SGPR: 2
; COMPUTE_PGM_RSRC2:TRAP_HANDLER: 0
; COMPUTE_PGM_RSRC2:TGID_X_EN: 1
; COMPUTE_PGM_RSRC2:TGID_Y_EN: 0
; COMPUTE_PGM_RSRC2:TGID_Z_EN: 0
; COMPUTE_PGM_RSRC2:TIDIG_COMP_CNT: 0
	.text
	.p2alignl 7, 3214868480
	.fill 96, 4, 3214868480
	.type	__hip_cuid_b2948a177f98860b,@object ; @__hip_cuid_b2948a177f98860b
	.section	.bss,"aw",@nobits
	.globl	__hip_cuid_b2948a177f98860b
__hip_cuid_b2948a177f98860b:
	.byte	0                               ; 0x0
	.size	__hip_cuid_b2948a177f98860b, 1

	.ident	"AMD clang version 19.0.0git (https://github.com/RadeonOpenCompute/llvm-project roc-6.4.0 25133 c7fe45cf4b819c5991fe208aaa96edf142730f1d)"
	.section	".note.GNU-stack","",@progbits
	.addrsig
	.addrsig_sym __hip_cuid_b2948a177f98860b
	.amdgpu_metadata
---
amdhsa.kernels:
  - .args:
      - .actual_access:  read_only
        .address_space:  global
        .offset:         0
        .size:           8
        .value_kind:     global_buffer
      - .offset:         8
        .size:           8
        .value_kind:     by_value
      - .actual_access:  read_only
        .address_space:  global
        .offset:         16
        .size:           8
        .value_kind:     global_buffer
      - .actual_access:  read_only
        .address_space:  global
        .offset:         24
        .size:           8
        .value_kind:     global_buffer
      - .offset:         32
        .size:           8
        .value_kind:     by_value
      - .actual_access:  read_only
        .address_space:  global
        .offset:         40
        .size:           8
        .value_kind:     global_buffer
      - .actual_access:  read_only
        .address_space:  global
        .offset:         48
        .size:           8
        .value_kind:     global_buffer
      - .offset:         56
        .size:           4
        .value_kind:     by_value
      - .actual_access:  read_only
        .address_space:  global
        .offset:         64
        .size:           8
        .value_kind:     global_buffer
      - .actual_access:  read_only
        .address_space:  global
        .offset:         72
        .size:           8
        .value_kind:     global_buffer
      - .address_space:  global
        .offset:         80
        .size:           8
        .value_kind:     global_buffer
    .group_segment_fixed_size: 0
    .kernarg_segment_align: 8
    .kernarg_segment_size: 88
    .language:       OpenCL C
    .language_version:
      - 2
      - 0
    .max_flat_workgroup_size: 324
    .name:           fft_rtc_fwd_len3888_factors_16_3_3_3_3_3_wgs_324_tpt_324_halfLds_dp_ip_CI_unitstride_sbrr_R2C_dirReg
    .private_segment_fixed_size: 0
    .sgpr_count:     34
    .sgpr_spill_count: 0
    .symbol:         fft_rtc_fwd_len3888_factors_16_3_3_3_3_3_wgs_324_tpt_324_halfLds_dp_ip_CI_unitstride_sbrr_R2C_dirReg.kd
    .uniform_work_group_size: 1
    .uses_dynamic_stack: false
    .vgpr_count:     108
    .vgpr_spill_count: 0
    .wavefront_size: 32
    .workgroup_processor_mode: 1
amdhsa.target:   amdgcn-amd-amdhsa--gfx1201
amdhsa.version:
  - 1
  - 2
...

	.end_amdgpu_metadata
